;; amdgpu-corpus repo=ROCm/rccl kind=compiled arch=gfx90a opt=O3
	.text
	.amdgcn_target "amdgcn-amd-amdhsa--gfx90a"
	.amdhsa_code_object_version 6
	.p2align	2                               ; -- Begin function _ZN12_GLOBAL__N_17runRingI14__hip_fp8_e5m210FuncMinMaxIS1_E7ProtoLLLi0ELi1ELi0EEEviiP15ncclDevWorkColl
	.type	_ZN12_GLOBAL__N_17runRingI14__hip_fp8_e5m210FuncMinMaxIS1_E7ProtoLLLi0ELi1ELi0EEEviiP15ncclDevWorkColl,@function
_ZN12_GLOBAL__N_17runRingI14__hip_fp8_e5m210FuncMinMaxIS1_E7ProtoLLLi0ELi1ELi0EEEviiP15ncclDevWorkColl: ; @_ZN12_GLOBAL__N_17runRingI14__hip_fp8_e5m210FuncMinMaxIS1_E7ProtoLLLi0ELi1ELi0EEEviiP15ncclDevWorkColl
; %bb.0:
	s_waitcnt vmcnt(0) expcnt(0) lgkmcnt(0)
	s_or_saveexec_b64 s[4:5], -1
	buffer_store_dword v63, off, s[0:3], s32 offset:128 ; 4-byte Folded Spill
	s_mov_b64 exec, s[4:5]
	buffer_store_dword v40, off, s[0:3], s32 offset:124 ; 4-byte Folded Spill
	buffer_store_dword v41, off, s[0:3], s32 offset:120 ; 4-byte Folded Spill
	;; [unrolled: 1-line block ×31, first 2 shown]
	buffer_store_dword a49, off, s[0:3], s32 ; 4-byte Folded Spill
	v_writelane_b32 v63, s34, 0
	v_writelane_b32 v63, s35, 1
	;; [unrolled: 1-line block ×48, first 2 shown]
	s_trap 2
	flat_load_dword v7, v[2:3]
	flat_load_dwordx4 v[10:13], v[2:3] offset:72
	flat_load_dwordx2 v[22:23], v[2:3] offset:88
	ds_read_b32 v5, v0
	ds_read_b64 v[60:61], v0
	v_mov_b32_e32 v20, v1
                                        ; implicit-def: $vgpr26_vgpr27
                                        ; implicit-def: $agpr8_agpr9
	s_waitcnt lgkmcnt(0)
	v_readfirstlane_b32 s22, v5
	s_waitcnt vmcnt(0)
	v_not_b32_sdwa v6, v7 dst_sel:DWORD dst_unused:UNUSED_PAD src0_sel:BYTE_0
	v_add_u32_sdwa v4, v7, v6 dst_sel:DWORD dst_unused:UNUSED_PAD src0_sel:BYTE_1 src1_sel:DWORD
	v_ashrrev_i32_e32 v8, 31, v4
	v_mul_lo_u32 v9, v13, v4
	v_mad_u64_u32 v[18:19], s[4:5], v12, v4, 0
	v_accvgpr_write_b32 a2, v10
	v_mul_lo_u32 v4, v12, v8
	v_accvgpr_write_b32 a3, v11
	v_accvgpr_write_b32 a4, v12
	;; [unrolled: 1-line block ×3, first 2 shown]
	v_add3_u32 v4, v19, v4, v9
	v_cmp_ne_u32_sdwa s[4:5], v7, v5 src0_sel:BYTE_0 src1_sel:DWORD
	s_and_saveexec_b64 s[6:7], s[4:5]
	s_xor_b64 s[4:5], exec, s[6:7]
	s_cbranch_execz .LBB0_6
; %bb.1:
	v_cmp_ne_u32_sdwa s[6:7], v7, v5 src0_sel:BYTE_1 src1_sel:DWORD
                                        ; implicit-def: $vgpr26_vgpr27
                                        ; implicit-def: $agpr8_agpr9
	s_and_saveexec_b64 s[10:11], s[6:7]
	s_xor_b64 s[6:7], exec, s[10:11]
	s_cbranch_execz .LBB0_3
; %bb.2:
	flat_load_dwordx2 v[8:9], v[2:3] offset:96
	v_add_u32_e32 v5, v5, v6
	v_accvgpr_read_b32 v13, a5
	v_ashrrev_i32_e32 v6, 31, v5
	v_accvgpr_read_b32 v12, a4
	v_accvgpr_read_b32 v11, a3
	;; [unrolled: 1-line block ×3, first 2 shown]
	v_mul_lo_u32 v6, v12, v6
	v_mul_lo_u32 v7, v13, v5
	v_mad_u64_u32 v[10:11], s[10:11], v12, v5, v[10:11]
	v_add3_u32 v11, v7, v11, v6
	v_accvgpr_write_b32 a8, v10
	v_accvgpr_write_b32 a9, v11
	s_waitcnt vmcnt(0) lgkmcnt(0)
	v_lshrrev_b64 v[26:27], 17, v[8:9]
.LBB0_3:
	s_andn2_saveexec_b64 s[6:7], s[6:7]
	s_cbranch_execz .LBB0_5
; %bb.4:
	flat_load_dword v5, v[2:3] offset:100
	v_accvgpr_read_b32 v7, a3
	v_accvgpr_read_b32 v6, a2
	v_add_co_u32_e32 v8, vcc, v18, v6
	v_addc_co_u32_e32 v9, vcc, v4, v7, vcc
	v_accvgpr_write_b32 a8, v8
	v_accvgpr_write_b32 a9, v9
	v_pk_mov_b32 v[8:9], v[22:23], v[22:23] op_sel:[0,1]
	v_accvgpr_write_b32 a2, v6
	v_accvgpr_write_b32 a3, v7
	;; [unrolled: 1-line block ×4, first 2 shown]
	s_waitcnt vmcnt(0) lgkmcnt(0)
	v_lshrrev_b32_e32 v26, 6, v5
.LBB0_5:
	s_or_b64 exec, exec, s[6:7]
.LBB0_6:
	s_andn2_saveexec_b64 s[4:5], s[4:5]
	s_cbranch_execz .LBB0_8
; %bb.7:
	flat_load_dwordx2 v[6:7], v[2:3] offset:96
	v_pk_mov_b32 v[8:9], 0, 0
	v_accvgpr_write_b32 a8, v8
	v_accvgpr_mov_b32 a5, a3
	v_accvgpr_write_b32 a9, v9
	v_accvgpr_mov_b32 a4, a2
	s_waitcnt vmcnt(0) lgkmcnt(0)
	v_lshlrev_b64 v[26:27], 4, v[6:7]
.LBB0_8:
	s_or_b64 exec, exec, s[4:5]
	s_load_dword s4, s[8:9], 0x0
	flat_load_dwordx2 v[8:9], v[2:3] offset:104
	flat_load_ushort v7, v[2:3] offset:8
	flat_load_dword v6, v[2:3] offset:4
	flat_load_dwordx4 a[10:13], v[2:3] offset:16
	v_mov_b32_e32 v3, 0
	v_mov_b32_e32 v10, v0
	s_waitcnt lgkmcnt(0)
	s_cmp_lt_u32 s12, s4
	s_cselect_b32 s4, 12, 18
	s_add_u32 s4, s8, s4
	s_addc_u32 s5, s9, 0
	global_load_ushort v9, v3, s[4:5]
	s_trap 2
	ds_read_b32 v2, v0
	v_and_b32_e32 v5, 63, v10
	s_mov_b32 s6, 0
	v_pk_mov_b32 v[24:25], 0, 0
	v_cmp_eq_u32_e64 s[4:5], 0, v5
	s_waitcnt lgkmcnt(0)
	v_cmp_gt_i32_e32 vcc, 0, v2
	v_readfirstlane_b32 s8, v2
	s_waitcnt vmcnt(0)
	v_lshrrev_b64 v[6:7], 31, v[6:7]
	v_and_b32_e32 v6, 3, v6
	s_cbranch_vccnz .LBB0_10
; %bb.9:
	s_trap 2
	ds_read_b64 v[10:11], v0
	v_lshlrev_b64 v[2:3], 3, v[2:3]
	v_and_b32_e32 v7, 0xffff, v6
	s_movk_i32 s6, 0xa8
	s_waitcnt lgkmcnt(0)
	v_add_co_u32_e32 v2, vcc, v10, v2
	v_addc_co_u32_e32 v3, vcc, v11, v3, vcc
	flat_load_dwordx2 v[2:3], v[2:3]
	s_waitcnt vmcnt(0) lgkmcnt(0)
	v_mad_u64_u32 v[2:3], s[6:7], v7, s6, v[2:3]
	flat_load_dwordx2 a[18:19], v[2:3] offset:504
	flat_load_dwordx2 v[34:35], v[2:3] offset:608
	v_add_co_u32_e32 v2, vcc, 0x1f8, v2
	v_addc_co_u32_e32 v3, vcc, 0, v3, vcc
	v_cndmask_b32_e64 v29, 0, v3, s[4:5]
	v_cndmask_b32_e64 v28, 0, v2, s[4:5]
	s_mov_b32 s6, 1
	s_branch .LBB0_11
.LBB0_10:
	v_pk_mov_b32 v[28:29], v[24:25], v[24:25] op_sel:[0,1]
                                        ; implicit-def: $vgpr34_vgpr35
                                        ; implicit-def: $agpr18_agpr19
.LBB0_11:
	s_trap 2
	ds_read_b32 v2, v0
	s_waitcnt lgkmcnt(0)
	v_cmp_gt_i32_e32 vcc, 0, v2
	s_cbranch_vccnz .LBB0_13
; %bb.12:
	s_trap 2
	ds_read_b64 v[10:11], v0
	v_mov_b32_e32 v3, 0
	v_lshlrev_b64 v[2:3], 3, v[2:3]
	v_and_b32_e32 v6, 0xffff, v6
	s_movk_i32 s4, 0xa8
	s_waitcnt lgkmcnt(0)
	v_add_co_u32_e32 v2, vcc, v10, v2
	v_addc_co_u32_e32 v3, vcc, v11, v3, vcc
	flat_load_dwordx2 v[2:3], v[2:3]
	v_cmp_eq_u32_e32 vcc, 0, v5
	s_waitcnt vmcnt(0) lgkmcnt(0)
	v_mad_u64_u32 v[2:3], s[4:5], v6, s4, v[2:3]
	flat_load_dwordx2 a[20:21], v[2:3]
	flat_load_dwordx2 v[16:17], v[2:3] offset:104
	v_cndmask_b32_e32 v25, 0, v3, vcc
	v_cndmask_b32_e32 v24, 0, v2, vcc
	s_branch .LBB0_14
.LBB0_13:
                                        ; implicit-def: $vgpr16_vgpr17
                                        ; implicit-def: $agpr20_agpr21
.LBB0_14:
	v_subrev_u32_e32 v2, 64, v20
	v_mov_b32_e32 v6, v0
	v_pk_mov_b32 v[12:13], 0, 0
	v_cmp_le_i32_e32 vcc, v2, v6
	v_cmp_gt_u32_e64 s[4:5], s6, v5
	v_accvgpr_write_b32 a23, v13
	s_and_b64 s[24:25], vcc, s[4:5]
	v_accvgpr_write_b32 a22, v12
                                        ; implicit-def: $vgpr38_vgpr39
	s_and_saveexec_b64 s[4:5], s[24:25]
	s_cbranch_execz .LBB0_16
; %bb.15:
	flat_load_dwordx2 a[22:23], v[28:29] offset:56
	flat_load_dwordx2 v[38:39], v[28:29] offset:104
.LBB0_16:
	s_or_b64 exec, exec, s[4:5]
	v_mov_b32_e32 v2, v0
	v_cmp_gt_i32_e64 s[4:5], s6, v2
	v_pk_mov_b32 v[32:33], v[12:13], v[12:13] op_sel:[0,1]
                                        ; implicit-def: $vgpr52_vgpr53
	s_and_saveexec_b64 s[6:7], s[4:5]
	s_cbranch_execz .LBB0_18
; %bb.17:
	flat_load_dwordx2 v[32:33], v[24:25] offset:56
	s_waitcnt vmcnt(0) lgkmcnt(0)
	flat_load_dwordx2 v[52:53], v[32:33] glc
	s_waitcnt vmcnt(0)
	flat_load_dwordx4 v[12:15], v[24:25] offset:96
.LBB0_18:
	s_or_b64 exec, exec, s[6:7]
	v_accvgpr_read_b32 v51, a5
	v_accvgpr_read_b32 v50, a4
	;; [unrolled: 1-line block ×4, first 2 shown]
	v_cmp_ne_u64_e32 vcc, 0, v[50:51]
	v_pk_mov_b32 v[42:43], 0, 0
	s_and_saveexec_b64 s[26:27], vcc
	s_cbranch_execz .LBB0_980
; %bb.19:
	v_add_co_u32_e32 v1, vcc, v22, v48
	s_ashr_i32 s6, s8, 31
	v_addc_co_u32_e32 v2, vcc, v23, v49, vcc
	s_lshr_b32 s6, s6, 29
	v_add_co_u32_e32 v1, vcc, v1, v18
	s_ashr_i32 s23, s22, 31
	s_add_i32 s8, s8, s6
	v_accvgpr_write_b32 a3, v1
	v_addc_co_u32_e32 v1, vcc, v2, v4, vcc
	s_lshl_b64 s[6:7], s[22:23], 2
	v_accvgpr_write_b32 a26, v1
	v_mov_b32_e32 v1, s7
	v_add_co_u32_e32 v2, vcc, s6, v60
	v_addc_co_u32_e32 v1, vcc, v61, v1, vcc
	v_add_co_u32_e32 v2, vcc, -4, v2
	v_mov_b32_e32 v55, 0
	v_addc_co_u32_e32 v3, vcc, -1, v1, vcc
	v_and_b32_e32 v6, 0x1fffff0, v26
	v_mov_b32_e32 v7, v55
	v_accvgpr_write_b32 a29, v3
	v_and_b32_e32 v1, 63, v31
	v_ashrrev_i32_e32 v21, 31, v20
	v_pk_mov_b32 v[18:19], v[6:7], v[6:7] op_sel:[0,1]
	v_accvgpr_write_b32 a28, v2
	v_cmp_eq_u32_e64 s[12:13], 0, v1
	v_lshrrev_b32_e32 v1, 26, v21
	v_mov_b32_e32 v2, v0
	v_accvgpr_read_b32 v4, a10
	v_add_u32_e32 v1, v20, v1
	v_lshlrev_b32_e32 v10, 3, v2
	v_accvgpr_read_b32 v6, a12
	v_and_b32_e32 v0, 1, v8
	v_ashrrev_i32_e32 v22, 6, v1
	v_ashrrev_i32_e32 v3, 31, v10
	v_accvgpr_read_b32 v7, a13
	v_add_co_u32_e32 v6, vcc, v6, v10
	v_cmp_eq_u32_e64 s[14:15], 1, v0
	s_waitcnt vmcnt(0) lgkmcnt(0)
	v_accvgpr_read_b32 v0, a22
	v_addc_co_u32_e32 v7, vcc, v7, v3, vcc
	v_accvgpr_read_b32 v1, a23
	v_accvgpr_read_b32 v5, a11
	v_cmp_ne_u64_e64 s[16:17], 0, v[0:1]
	v_add_co_u32_e32 v0, vcc, v4, v10
	v_accvgpr_write_b32 a34, v0
	v_addc_co_u32_e32 v0, vcc, v5, v3, vcc
	v_accvgpr_write_b32 a35, v0
	v_accvgpr_read_b32 v0, a8
	v_accvgpr_read_b32 v1, a9
	v_add_co_u32_e32 v0, vcc, v6, v0
	v_addc_co_u32_e32 v1, vcc, v7, v1, vcc
	v_accvgpr_write_b32 a27, v3
	v_accvgpr_write_b32 a37, v1
	v_ashrrev_i32_e32 v3, 31, v2
	s_ashr_i32 s10, s8, 3
	v_accvgpr_write_b32 a36, v0
	v_accvgpr_write_b32 a2, v2
	v_lshlrev_b64 v[0:1], 4, v[2:3]
	v_accvgpr_read_b32 v2, a20
	s_ashr_i32 s62, s8, 7
	s_and_b32 s23, s10, -16
	v_accvgpr_read_b32 v3, a21
	v_add_co_u32_e32 v0, vcc, v2, v0
	v_accvgpr_write_b32 a16, v28
	v_accvgpr_write_b32 a14, v24
	;; [unrolled: 1-line block ×3, first 2 shown]
	s_cmp_gt_i32 s22, 2
	v_lshlrev_b32_e32 v31, 6, v20
	v_accvgpr_write_b32 a39, v0
	v_addc_co_u32_e32 v0, vcc, v3, v1, vcc
	s_mov_b32 s38, -1
	v_ashrrev_i32_e32 v1, 31, v22
	v_lshlrev_b32_e32 v56, 3, v20
	v_pk_mov_b32 v[36:37], 0, 0
	v_accvgpr_write_b32 a10, v32
	v_accvgpr_write_b32 a17, v29
	;; [unrolled: 1-line block ×3, first 2 shown]
	s_mov_b64 s[28:29], 0
	v_cmp_ne_u64_e64 s[6:7], 0, v[32:33]
	v_cmp_ne_u64_e64 s[8:9], 0, v[12:13]
	v_cmp_ne_u32_e64 s[10:11], 64, v20
	v_accvgpr_write_b32 a1, v9
	v_cmp_ne_u32_sdwa s[30:31], v9, v20 src0_sel:WORD_0 src1_sel:DWORD
	s_cselect_b64 s[34:35], -1, 0
	v_accvgpr_write_b32 a32, v10
	v_accvgpr_write_b32 a31, v6
	;; [unrolled: 1-line block ×4, first 2 shown]
	s_movk_i32 s63, 0x2710
	s_mov_b64 s[36:37], 0x7ffffff8
	s_movk_i32 s64, 0xff
	s_movk_i32 s65, 0xff80
	;; [unrolled: 1-line block ×3, first 2 shown]
	s_brev_b32 s67, 1
	s_mov_b32 s39, 0xffffff
	s_movk_i32 s68, 0x80
	s_mov_b64 s[40:41], 0x7f800000
	s_mov_b64 s[42:43], 0x47600001
	s_movk_i32 s69, 0x72
	s_mov_b64 s[44:45], 0xffffff
	s_movk_i32 s70, 0x7f
	s_mov_b32 s71, 0x7c0000
	s_brev_b32 s72, 62
	s_mov_b32 s73, 0xc0c0500
	s_mov_b32 s74, 0x4020c0c
	;; [unrolled: 1-line block ×5, first 2 shown]
	v_bfrev_b32_e32 v47, 28
	v_mov_b32_e32 v6, -1
	v_mov_b32_e32 v7, 0xc7600000
	v_mov_b32_e32 v10, 0x47600000
	;; [unrolled: 1-line block ×6, first 2 shown]
	v_accvgpr_write_b32 a30, v22
	v_accvgpr_write_b32 a41, v1
	v_ashrrev_i32_e32 v57, 31, v56
	v_lshlrev_b64 v[58:59], 4, v[20:21]
	v_pk_mov_b32 v[42:43], v[36:37], v[36:37] op_sel:[0,1]
	v_pk_mov_b32 v[4:5], v[50:51], v[50:51] op_sel:[0,1]
	v_accvgpr_write_b32 a11, v33
	v_accvgpr_write_b32 a38, v31
	s_branch .LBB0_21
.LBB0_20:                               ;   in Loop: Header=BB0_21 Depth=1
	s_or_b64 exec, exec, s[18:19]
	v_add_co_u32_e32 v34, vcc, 1, v34
	v_addc_co_u32_e32 v35, vcc, 0, v35, vcc
	v_add_co_u32_e32 v36, vcc, v36, v18
	v_addc_co_u32_e32 v37, vcc, 0, v37, vcc
	v_cmp_ge_u64_e32 vcc, v[36:37], v[4:5]
	v_accvgpr_read_b32 v0, a36
	s_or_b64 s[28:29], vcc, s[28:29]
	v_accvgpr_read_b32 v1, a37
	v_add_co_u32_e32 v0, vcc, v0, v18
	v_addc_co_u32_e32 v1, vcc, 0, v1, vcc
	v_accvgpr_write_b32 a37, v1
	v_accvgpr_write_b32 a36, v0
	s_andn2_b64 exec, exec, s[28:29]
	s_cbranch_execz .LBB0_979
.LBB0_21:                               ; =>This Loop Header: Depth=1
                                        ;     Child Loop BB0_28 Depth 2
                                        ;     Child Loop BB0_45 Depth 2
	;; [unrolled: 1-line block ×5, first 2 shown]
                                        ;       Child Loop BB0_85 Depth 3
                                        ;       Child Loop BB0_101 Depth 3
	;; [unrolled: 1-line block ×3, first 2 shown]
                                        ;         Child Loop BB0_122 Depth 4
                                        ;       Child Loop BB0_522 Depth 3
                                        ;       Child Loop BB0_78 Depth 3
                                        ;     Child Loop BB0_539 Depth 2
                                        ;       Child Loop BB0_547 Depth 3
                                        ;     Child Loop BB0_966 Depth 2
	v_accvgpr_read_b32 v0, a28
	v_accvgpr_read_b32 v1, a29
	s_waitcnt vmcnt(0) lgkmcnt(0)
	flat_load_dword v2, v[0:1]
	v_sub_co_u32_e32 v0, vcc, v4, v36
	v_subb_co_u32_e32 v1, vcc, v5, v37, vcc
	v_cmp_lt_u64_e32 vcc, v[18:19], v[0:1]
	v_cndmask_b32_e32 v3, v0, v18, vcc
	v_lshl_add_u32 v0, v3, 1, 14
	v_and_b32_e32 v0, 0x7fffff0, v0
	v_accvgpr_write_b32 a44, v0
	s_and_saveexec_b64 s[18:19], s[6:7]
	s_cbranch_execz .LBB0_37
; %bb.22:                               ;   in Loop: Header=BB0_21 Depth=1
	v_add_co_u32_e32 v0, vcc, 1, v14
	v_addc_co_u32_e32 v1, vcc, 0, v15, vcc
	v_add_co_u32_e32 v4, vcc, 8, v52
	v_addc_co_u32_e32 v5, vcc, 0, v53, vcc
	v_cmp_lt_u64_e32 vcc, v[4:5], v[0:1]
	s_and_saveexec_b64 s[20:21], vcc
	s_cbranch_execz .LBB0_34
; %bb.23:                               ;   in Loop: Header=BB0_21 Depth=1
	s_sleep 1
	flat_load_dwordx2 v[52:53], v[32:33] glc
	v_cmp_eq_u32_e32 vcc, 0, v49
	s_and_saveexec_b64 s[46:47], vcc
	s_cbranch_execz .LBB0_33
; %bb.24:                               ;   in Loop: Header=BB0_21 Depth=1
	v_cndmask_b32_e64 v4, 0, 1, vcc
	s_mov_b64 s[48:49], 0
                                        ; implicit-def: $sgpr50_sgpr51
	s_branch .LBB0_28
.LBB0_25:                               ;   in Loop: Header=BB0_28 Depth=2
	s_or_b64 exec, exec, s[58:59]
	s_orn2_b64 s[56:57], s[56:57], exec
.LBB0_26:                               ;   in Loop: Header=BB0_28 Depth=2
	s_or_b64 exec, exec, s[54:55]
	s_xor_b64 vcc, s[56:57], -1
	s_andn2_b64 s[50:51], s[50:51], exec
	s_and_b64 vcc, vcc, exec
	s_or_b64 s[50:51], s[50:51], vcc
.LBB0_27:                               ;   in Loop: Header=BB0_28 Depth=2
	s_or_b64 exec, exec, s[52:53]
	s_and_b64 vcc, exec, s[50:51]
	s_or_b64 s[48:49], vcc, s[48:49]
	s_andn2_b64 exec, exec, s[48:49]
	s_cbranch_execz .LBB0_32
.LBB0_28:                               ;   Parent Loop BB0_21 Depth=1
                                        ; =>  This Inner Loop Header: Depth=2
	s_waitcnt vmcnt(0) lgkmcnt(0)
	v_add_co_u32_e32 v8, vcc, 8, v52
	v_addc_co_u32_e32 v9, vcc, 0, v53, vcc
	v_cmp_lt_u64_e32 vcc, v[8:9], v[0:1]
	v_mov_b32_e32 v49, 0
	s_or_b64 s[50:51], s[50:51], exec
	s_and_saveexec_b64 s[52:53], vcc
	s_cbranch_execz .LBB0_27
; %bb.29:                               ;   in Loop: Header=BB0_28 Depth=2
	s_sleep 1
	flat_load_dwordx2 v[52:53], v[32:33] glc
	v_add_u32_e32 v4, 1, v4
	v_cmp_eq_u32_e32 vcc, s63, v4
	s_mov_b64 s[56:57], -1
	v_mov_b32_e32 v49, 0
	s_and_saveexec_b64 s[54:55], vcc
	s_cbranch_execz .LBB0_26
; %bb.30:                               ;   in Loop: Header=BB0_28 Depth=2
	s_trap 2
	ds_read_b64 v[4:5], v0
	v_mov_b32_e32 v49, 0
	s_waitcnt vmcnt(0) lgkmcnt(0)
	flat_load_dword v5, v[4:5] glc
	s_waitcnt vmcnt(0) lgkmcnt(0)
	buffer_invl2
	buffer_wbinvl1_vol
	v_mov_b32_e32 v4, 0
	v_cmp_ne_u32_e32 vcc, 0, v5
	s_and_saveexec_b64 s[58:59], vcc
	s_cbranch_execz .LBB0_25
; %bb.31:                               ;   in Loop: Header=BB0_28 Depth=2
	v_mov_b32_e32 v49, 1
	s_xor_b64 s[56:57], exec, -1
	ds_write_b32 v0, v5
	s_trap 2
	s_branch .LBB0_25
.LBB0_32:                               ;   in Loop: Header=BB0_21 Depth=1
	s_or_b64 exec, exec, s[48:49]
.LBB0_33:                               ;   in Loop: Header=BB0_21 Depth=1
	s_or_b64 exec, exec, s[46:47]
.LBB0_34:                               ;   in Loop: Header=BB0_21 Depth=1
	s_or_b64 exec, exec, s[20:21]
	s_and_saveexec_b64 s[20:21], s[8:9]
	s_cbranch_execz .LBB0_36
; %bb.35:                               ;   in Loop: Header=BB0_21 Depth=1
	v_and_b32_e32 v54, 0x7ffffff8, v14
	v_mov_b32_e32 v4, s23
	v_cmp_eq_u64_e32 vcc, s[36:37], v[54:55]
	v_accvgpr_read_b32 v5, a44
	v_cndmask_b32_e32 v4, v5, v4, vcc
	v_and_b32_e32 v8, 7, v14
	v_ashrrev_i32_e32 v5, 31, v4
	v_mad_u64_u32 v[8:9], vcc, v8, 24, v[12:13]
	flat_store_dwordx2 v[8:9], v[4:5] offset:8
	s_waitcnt vmcnt(0)
.LBB0_36:                               ;   in Loop: Header=BB0_21 Depth=1
	s_or_b64 exec, exec, s[20:21]
	v_pk_mov_b32 v[14:15], v[0:1], v[0:1] op_sel:[0,1]
.LBB0_37:                               ;   in Loop: Header=BB0_21 Depth=1
	s_or_b64 exec, exec, s[18:19]
	s_and_saveexec_b64 s[18:19], s[10:11]
	s_cbranch_execz .LBB0_56
; %bb.38:                               ;   in Loop: Header=BB0_21 Depth=1
	s_and_saveexec_b64 s[20:21], s[30:31]
	s_xor_b64 s[20:21], exec, s[20:21]
	s_cbranch_execz .LBB0_53
; %bb.39:                               ;   in Loop: Header=BB0_21 Depth=1
	s_and_saveexec_b64 s[46:47], s[12:13]
	s_cbranch_execz .LBB0_52
; %bb.40:                               ;   in Loop: Header=BB0_21 Depth=1
	s_mov_b64 s[50:51], exec
	v_mbcnt_lo_u32_b32 v0, s50, 0
	v_mbcnt_hi_u32_b32 v0, s51, v0
	v_cmp_eq_u32_e32 vcc, 0, v0
	s_waitcnt vmcnt(0) lgkmcnt(0)
	buffer_wbinvl1_vol
	s_and_saveexec_b64 s[48:49], vcc
	s_cbranch_execz .LBB0_42
; %bb.41:                               ;   in Loop: Header=BB0_21 Depth=1
	s_bcnt1_i32_b64 vcc_lo, s[50:51]
	v_mov_b32_e32 v54, vcc_lo
	ds_add_u64 v0, v[54:55]
	s_trap 2
.LBB0_42:                               ;   in Loop: Header=BB0_21 Depth=1
	s_or_b64 exec, exec, s[48:49]
	s_trap 2
	ds_read_b64 v[0:1], v0
	v_accvgpr_read_b32 v4, a30
	v_add_co_u32_e32 v42, vcc, v42, v4
	v_accvgpr_read_b32 v5, a41
	v_addc_co_u32_e32 v43, vcc, v43, v5, vcc
	s_waitcnt lgkmcnt(0)
	v_cmp_lt_u64_e32 vcc, v[0:1], v[42:43]
	s_and_saveexec_b64 s[48:49], vcc
	s_cbranch_execz .LBB0_51
; %bb.43:                               ;   in Loop: Header=BB0_21 Depth=1
	s_mov_b32 s60, 0
	s_mov_b64 s[50:51], 0
                                        ; implicit-def: $sgpr52_sgpr53
                                        ; implicit-def: $sgpr54_sgpr55
	s_branch .LBB0_45
.LBB0_44:                               ;   in Loop: Header=BB0_45 Depth=2
	s_or_b64 exec, exec, s[58:59]
	s_and_b64 vcc, exec, vcc
	s_or_b64 s[50:51], vcc, s[50:51]
	s_andn2_b64 vcc, s[52:53], exec
	s_and_b64 s[52:53], s[54:55], exec
	s_or_b64 s[52:53], vcc, s[52:53]
	s_andn2_b64 exec, exec, s[50:51]
	s_cbranch_execz .LBB0_49
.LBB0_45:                               ;   Parent Loop BB0_21 Depth=1
                                        ; =>  This Inner Loop Header: Depth=2
	s_add_i32 s60, s60, 1
	s_cmpk_lg_i32 s60, 0x2710
	s_cselect_b64 s[56:57], -1, 0
	s_and_b64 vcc, exec, s[56:57]
                                        ; implicit-def: $sgpr58_sgpr59
	s_cbranch_vccnz .LBB0_47
; %bb.46:                               ;   in Loop: Header=BB0_45 Depth=2
	s_trap 2
	ds_read_b64 v[0:1], v0
	s_andn2_b64 s[56:57], s[56:57], exec
	s_mov_b32 s60, 0
	s_mov_b64 s[58:59], -1
	s_waitcnt lgkmcnt(0)
	flat_load_dword v0, v[0:1] glc
	s_waitcnt vmcnt(0) lgkmcnt(0)
	buffer_invl2
	buffer_wbinvl1_vol
	v_cmp_eq_u32_e32 vcc, 0, v0
	s_and_b64 vcc, vcc, exec
	s_or_b64 s[56:57], s[56:57], vcc
.LBB0_47:                               ;   in Loop: Header=BB0_45 Depth=2
	s_andn2_b64 s[54:55], s[54:55], exec
	s_and_b64 s[58:59], s[58:59], exec
	s_mov_b64 vcc, -1
	s_or_b64 s[54:55], s[54:55], s[58:59]
	s_and_saveexec_b64 s[58:59], s[56:57]
	s_cbranch_execz .LBB0_44
; %bb.48:                               ;   in Loop: Header=BB0_45 Depth=2
	s_sleep 1
	s_trap 2
	ds_read_b64 v[0:1], v0
	s_andn2_b64 s[54:55], s[54:55], exec
	s_waitcnt lgkmcnt(0)
	v_cmp_ge_u64_e32 vcc, v[0:1], v[42:43]
	s_orn2_b64 vcc, vcc, exec
	s_branch .LBB0_44
.LBB0_49:                               ;   in Loop: Header=BB0_21 Depth=1
	s_or_b64 exec, exec, s[50:51]
	s_and_saveexec_b64 vcc, s[52:53]
	s_xor_b64 vcc, exec, vcc
	s_cbranch_execz .LBB0_51
; %bb.50:                               ;   in Loop: Header=BB0_21 Depth=1
	v_mov_b32_e32 v0, 1
	ds_write_b32 v0, v0
	s_trap 2
.LBB0_51:                               ;   in Loop: Header=BB0_21 Depth=1
	s_or_b64 exec, exec, s[48:49]
	;;#ASMSTART
	s_wakeup
	;;#ASMEND
.LBB0_52:                               ;   in Loop: Header=BB0_21 Depth=1
	s_or_b64 exec, exec, s[46:47]
.LBB0_53:                               ;   in Loop: Header=BB0_21 Depth=1
	s_andn2_saveexec_b64 s[20:21], s[20:21]
	s_cbranch_execz .LBB0_55
; %bb.54:                               ;   in Loop: Header=BB0_21 Depth=1
	s_waitcnt vmcnt(0) lgkmcnt(0)
	buffer_wbinvl1_vol
	s_barrier
.LBB0_55:                               ;   in Loop: Header=BB0_21 Depth=1
	s_or_b64 exec, exec, s[20:21]
.LBB0_56:                               ;   in Loop: Header=BB0_21 Depth=1
	s_or_b64 exec, exec, s[18:19]
	v_accvgpr_read_b32 v0, a32
	v_accvgpr_write_b32 a25, v19
	v_sub_u32_e32 v62, v3, v0
	v_accvgpr_write_b32 a24, v18
	v_cmp_lt_i32_e64 s[18:19], 0, v62
	v_and_b32_e32 v1, 7, v16
	v_accvgpr_read_b32 v0, a2
	s_and_saveexec_b64 s[20:21], s[18:19]
	s_cbranch_execz .LBB0_64
; %bb.57:                               ;   in Loop: Header=BB0_21 Depth=1
	v_accvgpr_read_b32 v22, a36
	s_waitcnt vmcnt(0) lgkmcnt(0)
	v_ashrrev_i32_e32 v0, 31, v2
	v_mov_b32_e32 v3, v16
	v_add_co_u32_e64 v8, vcc, 0, 0
	v_accvgpr_read_b32 v21, a3
	v_accvgpr_read_b32 v23, a37
	v_accvgpr_read_b32 v9, a26
	v_mul_lo_u32 v4, v1, s62
	v_addc_co_u32_e32 v3, vcc, 1, v3, vcc
	v_mad_u64_u32 v[18:19], vcc, v21, v2, v[22:23]
	v_mul_lo_u32 v9, v9, v2
	v_mul_lo_u32 v0, v21, v0
	v_ashrrev_i32_e32 v5, 31, v4
	v_add3_u32 v19, v9, v19, v0
	v_mul_lo_u32 v0, v21, v2
	v_add_lshl_u32 v9, v22, v0, 3
	v_lshlrev_b64 v[4:5], 4, v[4:5]
	v_accvgpr_read_b32 v0, a39
	v_add_co_u32_e32 v24, vcc, v0, v4
	v_accvgpr_read_b32 v0, a40
	v_addc_co_u32_e32 v25, vcc, v0, v5, vcc
	s_mov_b64 s[46:47], 0
	v_mov_b32_e32 v21, v62
	v_accvgpr_read_b32 v0, a2
	s_branch .LBB0_59
.LBB0_58:                               ;   in Loop: Header=BB0_59 Depth=2
	s_or_b64 exec, exec, s[48:49]
	v_add_co_u32_e32 v18, vcc, v18, v56
	s_waitcnt vmcnt(0)
	v_alignbit_b32 v2, v23, v2, v9
	v_alignbit_b32 v4, v22, v23, v9
	v_sub_u32_e32 v21, v21, v56
	v_addc_co_u32_e32 v19, vcc, v19, v57, vcc
	v_or_b32_e32 v2, v8, v2
	v_or_b32_e32 v4, v8, v4
	v_mov_b32_e32 v5, v3
	v_cmp_gt_i32_e32 vcc, 1, v21
	global_store_dwordx4 v[24:25], v[2:5], off
	s_or_b64 s[46:47], vcc, s[46:47]
	v_add_co_u32_e32 v24, vcc, v24, v58
	v_add_u32_e32 v0, v0, v20
	v_add_u32_e32 v9, v9, v31
	v_addc_co_u32_e32 v25, vcc, v25, v59, vcc
	s_andn2_b64 exec, exec, s[46:47]
	s_cbranch_execz .LBB0_63
.LBB0_59:                               ;   Parent Loop BB0_21 Depth=1
                                        ; =>  This Inner Loop Header: Depth=2
	v_and_b32_e32 v4, -4, v18
	v_mov_b32_e32 v5, v19
	global_load_dword v2, v[4:5], off glc slc
	v_min_u32_e32 v23, 8, v21
	v_and_b32_e32 v26, 3, v18
	v_add_co_u32_e32 v26, vcc, v26, v23
	v_addc_co_u32_e64 v27, vcc, 0, 0, vcc
	v_mov_b32_e32 v22, 0
	v_cmp_lt_u64_e32 vcc, 4, v[26:27]
	v_mov_b32_e32 v23, 0
	s_and_saveexec_b64 s[48:49], vcc
	s_cbranch_execz .LBB0_61
; %bb.60:                               ;   in Loop: Header=BB0_59 Depth=2
	global_load_dword v23, v[4:5], off offset:4 glc slc
.LBB0_61:                               ;   in Loop: Header=BB0_59 Depth=2
	s_or_b64 exec, exec, s[48:49]
	v_cmp_lt_u64_e32 vcc, 8, v[26:27]
	s_and_saveexec_b64 s[48:49], vcc
	s_cbranch_execz .LBB0_58
; %bb.62:                               ;   in Loop: Header=BB0_59 Depth=2
	global_load_dword v22, v[4:5], off offset:8 glc slc
	s_branch .LBB0_58
.LBB0_63:                               ;   in Loop: Header=BB0_21 Depth=1
	s_or_b64 exec, exec, s[46:47]
.LBB0_64:                               ;   in Loop: Header=BB0_21 Depth=1
	s_or_b64 exec, exec, s[20:21]
	v_and_b32_e32 v54, 0x7ffffff8, v16
	v_cmp_eq_u64_e32 vcc, s[36:37], v[54:55]
	v_cmp_gt_i32_e64 s[20:21], s62, v0
	s_and_b64 s[20:21], vcc, s[20:21]
	s_and_saveexec_b64 s[46:47], s[20:21]
	s_cbranch_execz .LBB0_67
; %bb.65:                               ;   in Loop: Header=BB0_21 Depth=1
	v_mul_lo_u32 v4, v1, s62
	v_mov_b32_e32 v1, v16
	s_waitcnt vmcnt(0) lgkmcnt(0)
	v_add_co_u32_e64 v2, vcc, 0, 0
	v_ashrrev_i32_e32 v5, 31, v4
	v_addc_co_u32_e32 v3, vcc, 1, v1, vcc
	v_ashrrev_i32_e32 v1, 31, v0
	v_lshlrev_b64 v[8:9], 4, v[0:1]
	v_lshlrev_b64 v[4:5], 4, v[4:5]
	v_add_co_u32_e32 v1, vcc, v8, v4
	v_addc_co_u32_e32 v4, vcc, v9, v5, vcc
	v_accvgpr_read_b32 v8, a20
	v_accvgpr_read_b32 v9, a21
	v_add_co_u32_e32 v18, vcc, v8, v1
	v_addc_co_u32_e32 v19, vcc, v9, v4, vcc
	s_mov_b64 s[48:49], 0
.LBB0_66:                               ;   Parent Loop BB0_21 Depth=1
                                        ; =>  This Inner Loop Header: Depth=2
	v_mov_b32_e32 v4, v2
	v_mov_b32_e32 v5, v3
	v_add_u32_e32 v0, v0, v20
	global_store_dwordx4 v[18:19], v[2:5], off
	v_cmp_le_i32_e32 vcc, s62, v0
	v_add_co_u32_e64 v18, s[20:21], v18, v58
	s_or_b64 s[48:49], vcc, s[48:49]
	v_addc_co_u32_e64 v19, vcc, v19, v59, s[20:21]
	s_andn2_b64 exec, exec, s[48:49]
	s_cbranch_execnz .LBB0_66
.LBB0_67:                               ;   in Loop: Header=BB0_21 Depth=1
	s_or_b64 exec, exec, s[46:47]
	v_accvgpr_read_b32 v0, a8
	v_accvgpr_read_b32 v1, a9
	s_waitcnt vmcnt(0) lgkmcnt(0)
	v_add_co_u32_e32 v2, vcc, v36, v0
	v_addc_co_u32_e32 v1, vcc, v37, v1, vcc
	v_add_co_u32_e64 v28, s[20:21], 1, v16
	v_accvgpr_write_b32 a43, v37
	s_andn2_b64 vcc, exec, s[34:35]
	v_addc_co_u32_e64 v29, s[20:21], 0, v17, s[20:21]
	v_accvgpr_write_b32 a42, v36
	s_cbranch_vccnz .LBB0_533
; %bb.68:                               ;   in Loop: Header=BB0_21 Depth=1
	v_accvgpr_read_b32 v0, a31
	v_accvgpr_write_b32 a45, v2
	v_add_co_u32_e32 v2, vcc, v0, v2
	v_accvgpr_read_b32 v0, a33
	v_addc_co_u32_e32 v3, vcc, v0, v1, vcc
	v_accvgpr_write_b32 a49, v3
	v_accvgpr_write_b32 a46, v1
	;; [unrolled: 1-line block ×3, first 2 shown]
	v_add_u16_e32 v31, 1, v16
	s_mov_b32 s78, 2
	s_branch .LBB0_70
.LBB0_69:                               ;   in Loop: Header=BB0_70 Depth=2
	s_or_b64 exec, exec, s[46:47]
	v_add_co_u32_e32 v34, vcc, 1, v34
	v_addc_co_u32_e32 v35, vcc, 0, v35, vcc
	s_add_i32 s78, s78, 1
	v_add_co_u32_e32 v28, vcc, 1, v28
	v_addc_co_u32_e32 v29, vcc, 0, v29, vcc
	s_cmp_eq_u32 s78, s22
	v_add_u16_e32 v31, 1, v31
	s_cbranch_scc1 .LBB0_534
.LBB0_70:                               ;   Parent Loop BB0_21 Depth=1
                                        ; =>  This Loop Header: Depth=2
                                        ;       Child Loop BB0_85 Depth 3
                                        ;       Child Loop BB0_101 Depth 3
                                        ;       Child Loop BB0_114 Depth 3
                                        ;         Child Loop BB0_122 Depth 4
                                        ;       Child Loop BB0_522 Depth 3
                                        ;       Child Loop BB0_78 Depth 3
	s_sub_i32 s20, s22, s78
	s_ashr_i32 s21, s20, 31
	s_lshl_b64 s[20:21], s[20:21], 2
	v_mov_b32_e32 v1, s21
	v_add_co_u32_e32 v0, vcc, s20, v60
	v_addc_co_u32_e32 v1, vcc, v61, v1, vcc
	s_waitcnt vmcnt(0) lgkmcnt(0)
	flat_load_dword v2, v[0:1]
	s_and_saveexec_b64 s[20:21], s[6:7]
	s_cbranch_execnz .LBB0_79
; %bb.71:                               ;   in Loop: Header=BB0_70 Depth=2
	s_or_b64 exec, exec, s[20:21]
	s_and_saveexec_b64 s[20:21], s[10:11]
	s_cbranch_execnz .LBB0_94
.LBB0_72:                               ;   in Loop: Header=BB0_70 Depth=2
	s_or_b64 exec, exec, s[20:21]
	v_accvgpr_read_b32 v0, a2
	s_and_saveexec_b64 s[46:47], s[18:19]
	s_cbranch_execnz .LBB0_112
.LBB0_73:                               ;   in Loop: Header=BB0_70 Depth=2
	s_or_b64 exec, exec, s[46:47]
	s_and_saveexec_b64 s[20:21], s[10:11]
	s_cbranch_execnz .LBB0_515
.LBB0_74:                               ;   in Loop: Header=BB0_70 Depth=2
	s_or_b64 exec, exec, s[20:21]
	s_and_saveexec_b64 s[20:21], s[16:17]
	s_cbranch_execz .LBB0_76
.LBB0_75:                               ;   in Loop: Header=BB0_70 Depth=2
	v_add_co_u32_e32 v38, vcc, 1, v38
	s_waitcnt vmcnt(0) lgkmcnt(0)
	v_accvgpr_read_b32 v2, a22
	v_addc_co_u32_e32 v39, vcc, 0, v39, vcc
	v_accvgpr_read_b32 v3, a23
	flat_store_dwordx2 v[2:3], v[38:39]
.LBB0_76:                               ;   in Loop: Header=BB0_70 Depth=2
	s_or_b64 exec, exec, s[20:21]
	v_and_b32_e32 v54, 0x7ffffff8, v28
	v_cmp_eq_u64_e32 vcc, s[36:37], v[54:55]
	v_cmp_gt_i32_e64 s[20:21], s62, v0
	s_and_b64 s[20:21], vcc, s[20:21]
	s_and_saveexec_b64 s[46:47], s[20:21]
	s_cbranch_execz .LBB0_69
; %bb.77:                               ;   in Loop: Header=BB0_70 Depth=2
	v_and_b32_e32 v1, 7, v31
	s_waitcnt vmcnt(0) lgkmcnt(0)
	v_mul_lo_u32 v2, s62, v1
	v_ashrrev_i32_e32 v3, 31, v2
	v_lshlrev_b64 v[4:5], 4, v[2:3]
	v_mov_b32_e32 v1, v28
	v_add_co_u32_e64 v2, vcc, 0, 0
	v_addc_co_u32_e32 v3, vcc, 1, v1, vcc
	v_ashrrev_i32_e32 v1, 31, v0
	v_lshlrev_b64 v[8:9], 4, v[0:1]
	v_add_co_u32_e32 v1, vcc, v8, v4
	v_addc_co_u32_e32 v4, vcc, v9, v5, vcc
	v_accvgpr_read_b32 v8, a20
	v_accvgpr_read_b32 v9, a21
	v_add_co_u32_e32 v16, vcc, v8, v1
	v_addc_co_u32_e32 v17, vcc, v9, v4, vcc
	s_mov_b64 s[48:49], 0
.LBB0_78:                               ;   Parent Loop BB0_21 Depth=1
                                        ;     Parent Loop BB0_70 Depth=2
                                        ; =>    This Inner Loop Header: Depth=3
	v_mov_b32_e32 v4, v2
	v_mov_b32_e32 v5, v3
	v_add_u32_e32 v0, v0, v20
	global_store_dwordx4 v[16:17], v[2:5], off
	v_cmp_le_i32_e32 vcc, s62, v0
	v_add_co_u32_e64 v16, s[20:21], v16, v58
	s_or_b64 s[48:49], vcc, s[48:49]
	v_addc_co_u32_e64 v17, vcc, v17, v59, s[20:21]
	s_andn2_b64 exec, exec, s[48:49]
	s_cbranch_execnz .LBB0_78
	s_branch .LBB0_69
.LBB0_79:                               ;   in Loop: Header=BB0_70 Depth=2
	v_add_co_u32_e32 v0, vcc, 1, v14
	v_addc_co_u32_e32 v1, vcc, 0, v15, vcc
	v_add_co_u32_e32 v4, vcc, 8, v52
	v_addc_co_u32_e32 v5, vcc, 0, v53, vcc
	v_cmp_lt_u64_e32 vcc, v[4:5], v[0:1]
	s_and_saveexec_b64 s[46:47], vcc
	s_cbranch_execz .LBB0_91
; %bb.80:                               ;   in Loop: Header=BB0_70 Depth=2
	s_sleep 1
	flat_load_dwordx2 v[52:53], v[32:33] glc
	v_cmp_eq_u32_e32 vcc, 0, v49
	s_and_saveexec_b64 s[48:49], vcc
	s_cbranch_execz .LBB0_90
; %bb.81:                               ;   in Loop: Header=BB0_70 Depth=2
	v_cndmask_b32_e64 v3, 0, 1, vcc
	s_mov_b64 s[50:51], 0
                                        ; implicit-def: $sgpr52_sgpr53
	s_branch .LBB0_85
.LBB0_82:                               ;   in Loop: Header=BB0_85 Depth=3
	s_or_b64 exec, exec, s[60:61]
	s_orn2_b64 s[58:59], s[58:59], exec
.LBB0_83:                               ;   in Loop: Header=BB0_85 Depth=3
	s_or_b64 exec, exec, s[56:57]
	s_xor_b64 vcc, s[58:59], -1
	s_andn2_b64 s[52:53], s[52:53], exec
	s_and_b64 vcc, vcc, exec
	s_or_b64 s[52:53], s[52:53], vcc
.LBB0_84:                               ;   in Loop: Header=BB0_85 Depth=3
	s_or_b64 exec, exec, s[54:55]
	s_and_b64 vcc, exec, s[52:53]
	s_or_b64 s[50:51], vcc, s[50:51]
	s_andn2_b64 exec, exec, s[50:51]
	s_cbranch_execz .LBB0_89
.LBB0_85:                               ;   Parent Loop BB0_21 Depth=1
                                        ;     Parent Loop BB0_70 Depth=2
                                        ; =>    This Inner Loop Header: Depth=3
	s_waitcnt vmcnt(0) lgkmcnt(0)
	v_add_co_u32_e32 v4, vcc, 8, v52
	v_addc_co_u32_e32 v5, vcc, 0, v53, vcc
	v_cmp_lt_u64_e32 vcc, v[4:5], v[0:1]
	v_mov_b32_e32 v49, 0
	s_or_b64 s[52:53], s[52:53], exec
	s_and_saveexec_b64 s[54:55], vcc
	s_cbranch_execz .LBB0_84
; %bb.86:                               ;   in Loop: Header=BB0_85 Depth=3
	s_sleep 1
	flat_load_dwordx2 v[52:53], v[32:33] glc
	v_add_u32_e32 v3, 1, v3
	v_cmp_eq_u32_e32 vcc, s63, v3
	s_mov_b64 s[58:59], -1
	v_mov_b32_e32 v49, 0
	s_and_saveexec_b64 s[56:57], vcc
	s_cbranch_execz .LBB0_83
; %bb.87:                               ;   in Loop: Header=BB0_85 Depth=3
	s_trap 2
	ds_read_b64 v[4:5], v0
	v_mov_b32_e32 v3, 0
	v_mov_b32_e32 v49, 0
	s_waitcnt vmcnt(0) lgkmcnt(0)
	flat_load_dword v4, v[4:5] glc
	s_waitcnt vmcnt(0) lgkmcnt(0)
	buffer_invl2
	buffer_wbinvl1_vol
	v_cmp_ne_u32_e32 vcc, 0, v4
	s_and_saveexec_b64 s[60:61], vcc
	s_cbranch_execz .LBB0_82
; %bb.88:                               ;   in Loop: Header=BB0_85 Depth=3
	v_mov_b32_e32 v49, 1
	s_xor_b64 s[58:59], exec, -1
	ds_write_b32 v0, v4
	s_trap 2
	s_branch .LBB0_82
.LBB0_89:                               ;   in Loop: Header=BB0_70 Depth=2
	s_or_b64 exec, exec, s[50:51]
.LBB0_90:                               ;   in Loop: Header=BB0_70 Depth=2
	s_or_b64 exec, exec, s[48:49]
.LBB0_91:                               ;   in Loop: Header=BB0_70 Depth=2
	s_or_b64 exec, exec, s[46:47]
	s_and_saveexec_b64 s[46:47], s[8:9]
	s_cbranch_execz .LBB0_93
; %bb.92:                               ;   in Loop: Header=BB0_70 Depth=2
	v_and_b32_e32 v54, 0x7ffffff8, v14
	v_mov_b32_e32 v3, s23
	v_cmp_eq_u64_e32 vcc, s[36:37], v[54:55]
	v_accvgpr_read_b32 v4, a44
	v_cndmask_b32_e32 v4, v4, v3, vcc
	v_and_b32_e32 v3, 7, v14
	v_ashrrev_i32_e32 v5, 31, v4
	v_mad_u64_u32 v[8:9], vcc, v3, 24, v[12:13]
	flat_store_dwordx2 v[8:9], v[4:5] offset:8
	s_waitcnt vmcnt(0)
.LBB0_93:                               ;   in Loop: Header=BB0_70 Depth=2
	s_or_b64 exec, exec, s[46:47]
	v_pk_mov_b32 v[14:15], v[0:1], v[0:1] op_sel:[0,1]
	s_or_b64 exec, exec, s[20:21]
	s_and_saveexec_b64 s[20:21], s[10:11]
	s_cbranch_execz .LBB0_72
.LBB0_94:                               ;   in Loop: Header=BB0_70 Depth=2
	s_and_saveexec_b64 vcc, s[30:31]
	s_xor_b64 s[46:47], exec, vcc
	s_cbranch_execz .LBB0_109
; %bb.95:                               ;   in Loop: Header=BB0_70 Depth=2
	s_and_saveexec_b64 s[48:49], s[12:13]
	s_cbranch_execz .LBB0_108
; %bb.96:                               ;   in Loop: Header=BB0_70 Depth=2
	s_mov_b64 s[52:53], exec
	v_mbcnt_lo_u32_b32 v0, s52, 0
	v_mbcnt_hi_u32_b32 v0, s53, v0
	v_cmp_eq_u32_e32 vcc, 0, v0
	s_waitcnt vmcnt(0) lgkmcnt(0)
	buffer_wbinvl1_vol
	s_and_saveexec_b64 s[50:51], vcc
	s_cbranch_execz .LBB0_98
; %bb.97:                               ;   in Loop: Header=BB0_70 Depth=2
	s_bcnt1_i32_b64 vcc_lo, s[52:53]
	v_mov_b32_e32 v54, vcc_lo
	ds_add_u64 v0, v[54:55]
	s_trap 2
.LBB0_98:                               ;   in Loop: Header=BB0_70 Depth=2
	s_or_b64 exec, exec, s[50:51]
	s_trap 2
	ds_read_b64 v[0:1], v0
	v_accvgpr_read_b32 v4, a30
	v_add_co_u32_e32 v42, vcc, v42, v4
	v_accvgpr_read_b32 v3, a41
	v_addc_co_u32_e32 v43, vcc, v43, v3, vcc
	s_waitcnt lgkmcnt(0)
	v_cmp_lt_u64_e32 vcc, v[0:1], v[42:43]
	s_and_saveexec_b64 s[50:51], vcc
	s_cbranch_execz .LBB0_107
; %bb.99:                               ;   in Loop: Header=BB0_70 Depth=2
	s_mov_b32 s79, 0
	s_mov_b64 s[52:53], 0
                                        ; implicit-def: $sgpr54_sgpr55
                                        ; implicit-def: $sgpr56_sgpr57
	s_branch .LBB0_101
.LBB0_100:                              ;   in Loop: Header=BB0_101 Depth=3
	s_or_b64 exec, exec, s[60:61]
	s_and_b64 vcc, exec, vcc
	s_or_b64 s[52:53], vcc, s[52:53]
	s_andn2_b64 vcc, s[54:55], exec
	s_and_b64 s[54:55], s[56:57], exec
	s_or_b64 s[54:55], vcc, s[54:55]
	s_andn2_b64 exec, exec, s[52:53]
	s_cbranch_execz .LBB0_105
.LBB0_101:                              ;   Parent Loop BB0_21 Depth=1
                                        ;     Parent Loop BB0_70 Depth=2
                                        ; =>    This Inner Loop Header: Depth=3
	s_add_i32 s79, s79, 1
	s_cmpk_lg_i32 s79, 0x2710
	s_cselect_b64 s[58:59], -1, 0
	s_and_b64 vcc, exec, s[58:59]
                                        ; implicit-def: $sgpr60_sgpr61
	s_cbranch_vccnz .LBB0_103
; %bb.102:                              ;   in Loop: Header=BB0_101 Depth=3
	s_trap 2
	ds_read_b64 v[0:1], v0
	s_andn2_b64 s[58:59], s[58:59], exec
	s_mov_b32 s79, 0
	s_mov_b64 s[60:61], -1
	s_waitcnt lgkmcnt(0)
	flat_load_dword v0, v[0:1] glc
	s_waitcnt vmcnt(0) lgkmcnt(0)
	buffer_invl2
	buffer_wbinvl1_vol
	v_cmp_eq_u32_e32 vcc, 0, v0
	s_and_b64 vcc, vcc, exec
	s_or_b64 s[58:59], s[58:59], vcc
.LBB0_103:                              ;   in Loop: Header=BB0_101 Depth=3
	s_andn2_b64 s[56:57], s[56:57], exec
	s_and_b64 s[60:61], s[60:61], exec
	s_mov_b64 vcc, -1
	s_or_b64 s[56:57], s[56:57], s[60:61]
	s_and_saveexec_b64 s[60:61], s[58:59]
	s_cbranch_execz .LBB0_100
; %bb.104:                              ;   in Loop: Header=BB0_101 Depth=3
	s_sleep 1
	s_trap 2
	ds_read_b64 v[0:1], v0
	s_andn2_b64 s[56:57], s[56:57], exec
	s_waitcnt lgkmcnt(0)
	v_cmp_ge_u64_e32 vcc, v[0:1], v[42:43]
	s_orn2_b64 vcc, vcc, exec
	s_branch .LBB0_100
.LBB0_105:                              ;   in Loop: Header=BB0_70 Depth=2
	s_or_b64 exec, exec, s[52:53]
	s_and_saveexec_b64 vcc, s[54:55]
	s_xor_b64 vcc, exec, vcc
	s_cbranch_execz .LBB0_107
; %bb.106:                              ;   in Loop: Header=BB0_70 Depth=2
	v_mov_b32_e32 v0, 1
	ds_write_b32 v0, v0
	s_trap 2
.LBB0_107:                              ;   in Loop: Header=BB0_70 Depth=2
	s_or_b64 exec, exec, s[50:51]
	;;#ASMSTART
	s_wakeup
	;;#ASMEND
.LBB0_108:                              ;   in Loop: Header=BB0_70 Depth=2
	s_or_b64 exec, exec, s[48:49]
.LBB0_109:                              ;   in Loop: Header=BB0_70 Depth=2
	s_andn2_saveexec_b64 vcc, s[46:47]
	s_cbranch_execz .LBB0_111
; %bb.110:                              ;   in Loop: Header=BB0_70 Depth=2
	s_waitcnt vmcnt(0) lgkmcnt(0)
	buffer_wbinvl1_vol
	s_barrier
.LBB0_111:                              ;   in Loop: Header=BB0_70 Depth=2
	s_or_b64 exec, exec, vcc
	s_or_b64 exec, exec, s[20:21]
	v_accvgpr_read_b32 v0, a2
	s_and_saveexec_b64 s[46:47], s[18:19]
	s_cbranch_execz .LBB0_73
.LBB0_112:                              ;   in Loop: Header=BB0_70 Depth=2
	v_accvgpr_read_b32 v4, a48
	s_waitcnt vmcnt(0) lgkmcnt(0)
	v_ashrrev_i32_e32 v0, 31, v2
	v_accvgpr_read_b32 v3, a3
	v_accvgpr_read_b32 v5, a49
	;; [unrolled: 1-line block ×3, first 2 shown]
	v_mad_u64_u32 v[44:45], s[20:21], v3, v2, v[4:5]
	v_mul_lo_u32 v1, v1, v2
	v_mul_lo_u32 v0, v3, v0
	v_add3_u32 v45, v1, v45, v0
	v_and_b32_e32 v0, 7, v34
	v_mul_lo_u32 v0, v0, s62
	v_ashrrev_i32_e32 v1, 31, v0
	v_lshlrev_b64 v[0:1], 4, v[0:1]
	v_accvgpr_read_b32 v2, a18
	v_add_co_u32_e32 v8, vcc, v2, v0
	v_and_b32_e32 v0, 7, v28
	v_accvgpr_read_b32 v3, a19
	v_mul_lo_u32 v0, v0, s62
	v_addc_co_u32_e32 v9, vcc, v3, v1, vcc
	v_ashrrev_i32_e32 v1, 31, v0
	v_lshlrev_b64 v[0:1], 4, v[0:1]
	v_accvgpr_read_b32 v2, a20
	v_accvgpr_write_b32 a6, v60
	v_accvgpr_read_b32 v3, a21
	v_add_co_u32_e32 v33, vcc, v2, v0
	v_accvgpr_write_b32 a7, v61
	v_addc_co_u32_e32 v60, vcc, v3, v1, vcc
	v_mov_b32_e32 v1, v28
	v_add_co_u32_e64 v61, vcc, 0, 0
	v_add_u32_e32 v32, 1, v34
	v_addc_co_u32_e32 v3, vcc, 1, v1, vcc
	s_mov_b64 s[48:49], 0
	v_mov_b32_e32 v21, v62
	v_accvgpr_read_b32 v0, a2
	s_branch .LBB0_114
.LBB0_113:                              ;   in Loop: Header=BB0_114 Depth=3
	s_or_b64 exec, exec, s[20:21]
	v_lshlrev_b32_e32 v17, 8, v26
	v_add_co_u32_e32 v44, vcc, v44, v56
	v_perm_b32 v1, v17, v1, s73
	v_lshlrev_b32_e32 v17, 8, v25
	v_addc_co_u32_e32 v45, vcc, v45, v57, vcc
	v_perm_b32 v18, v17, v22, s73
	v_lshlrev_b32_e32 v17, 16, v36
	v_and_b32_e32 v2, 0xff, v27
	v_perm_b32 v19, v16, v17, s74
	v_add_co_u32_e32 v16, vcc, v33, v4
	v_lshlrev_b32_e32 v2, 16, v2
	v_addc_co_u32_e32 v17, vcc, v60, v5, vcc
	v_sub_u32_e32 v21, v21, v56
	v_lshl_or_b32 v2, v23, 24, v2
	v_cmp_gt_i32_e32 vcc, 1, v21
	v_or3_b32 v2, v2, v1, v61
	v_or3_b32 v4, v19, v18, v61
	v_mov_b32_e32 v5, v3
	s_or_b64 s[48:49], vcc, s[48:49]
	v_add_u32_e32 v0, v0, v20
	global_store_dwordx4 v[16:17], v[2:5], off
	s_andn2_b64 exec, exec, s[48:49]
	s_cbranch_execz .LBB0_514
.LBB0_114:                              ;   Parent Loop BB0_21 Depth=1
                                        ;     Parent Loop BB0_70 Depth=2
                                        ; =>    This Loop Header: Depth=3
                                        ;         Child Loop BB0_122 Depth 4
	v_and_b32_e32 v4, -4, v44
	v_mov_b32_e32 v5, v45
	global_load_dword v2, v[4:5], off glc slc
	v_min_u32_e32 v1, 8, v21
	v_and_b32_e32 v16, 3, v44
	v_add_co_u32_e32 v16, vcc, v16, v1
	v_addc_co_u32_e64 v17, s[20:21], 0, 0, vcc
	v_mov_b32_e32 v46, 0
	v_cmp_lt_u64_e32 vcc, 4, v[16:17]
	v_mov_b32_e32 v22, 0
	s_and_saveexec_b64 s[20:21], vcc
	s_cbranch_execz .LBB0_116
; %bb.115:                              ;   in Loop: Header=BB0_114 Depth=3
	global_load_dword v22, v[4:5], off offset:4 glc slc
.LBB0_116:                              ;   in Loop: Header=BB0_114 Depth=3
	s_or_b64 exec, exec, s[20:21]
	v_cmp_lt_u64_e32 vcc, 8, v[16:17]
	s_and_saveexec_b64 s[20:21], vcc
	s_cbranch_execz .LBB0_118
; %bb.117:                              ;   in Loop: Header=BB0_114 Depth=3
	global_load_dword v46, v[4:5], off offset:8 glc slc
.LBB0_118:                              ;   in Loop: Header=BB0_114 Depth=3
	s_or_b64 exec, exec, s[20:21]
	v_ashrrev_i32_e32 v1, 31, v0
	v_lshlrev_b64 v[4:5], 4, v[0:1]
	v_add_co_u32_e32 v40, vcc, v8, v4
	v_addc_co_u32_e32 v41, vcc, v9, v5, vcc
	global_load_dwordx4 v[16:19], v[40:41], off glc slc
	v_cmp_eq_u32_e32 vcc, 0, v49
	s_and_saveexec_b64 s[50:51], vcc
	s_cbranch_execz .LBB0_130
; %bb.119:                              ;   in Loop: Header=BB0_114 Depth=3
	s_waitcnt vmcnt(0)
	v_cmp_ne_u32_e32 vcc, v32, v17
	v_cmp_ne_u32_e64 s[20:21], v32, v19
	s_or_b64 s[20:21], vcc, s[20:21]
	v_mov_b32_e32 v49, 0
	s_and_saveexec_b64 s[52:53], s[20:21]
	s_cbranch_execz .LBB0_129
; %bb.120:                              ;   in Loop: Header=BB0_114 Depth=3
	s_mov_b32 s58, 1
	s_mov_b64 s[54:55], 0
	v_mov_b32_e32 v49, 0
	s_branch .LBB0_122
.LBB0_121:                              ;   in Loop: Header=BB0_122 Depth=4
	s_or_b64 exec, exec, s[56:57]
	s_and_b64 s[20:21], exec, s[20:21]
	s_or_b64 s[54:55], s[20:21], s[54:55]
	s_andn2_b64 exec, exec, s[54:55]
	s_cbranch_execz .LBB0_128
.LBB0_122:                              ;   Parent Loop BB0_21 Depth=1
                                        ;     Parent Loop BB0_70 Depth=2
                                        ;       Parent Loop BB0_114 Depth=3
                                        ; =>      This Inner Loop Header: Depth=4
	global_load_dwordx4 v[16:19], v[40:41], off glc slc
	s_add_i32 s58, s58, 1
	s_cmpk_lg_i32 s58, 0x2710
	s_cbranch_scc1 .LBB0_126
; %bb.123:                              ;   in Loop: Header=BB0_122 Depth=4
	s_trap 2
	ds_read_b64 v[24:25], v0
	s_waitcnt vmcnt(0) lgkmcnt(0)
	flat_load_dword v1, v[24:25] glc
	s_waitcnt vmcnt(0) lgkmcnt(0)
	buffer_invl2
	buffer_wbinvl1_vol
	v_cmp_ne_u32_e32 vcc, 0, v1
	s_and_saveexec_b64 s[20:21], vcc
	s_cbranch_execz .LBB0_125
; %bb.124:                              ;   in Loop: Header=BB0_122 Depth=4
	v_mov_b32_e32 v49, 1
	ds_write_b32 v0, v1
	s_trap 2
.LBB0_125:                              ;   in Loop: Header=BB0_122 Depth=4
	s_or_b64 exec, exec, s[20:21]
	s_mov_b32 s58, 0
	v_mov_b32_e32 v1, v49
	v_cmp_eq_u32_e32 vcc, 0, v1
	s_mov_b64 s[20:21], -1
	s_and_saveexec_b64 s[56:57], vcc
	s_cbranch_execz .LBB0_121
	s_branch .LBB0_127
.LBB0_126:                              ;   in Loop: Header=BB0_122 Depth=4
	v_mov_b32_e32 v1, 0
	v_cmp_eq_u32_e32 vcc, 0, v1
	s_mov_b64 s[20:21], -1
	s_and_saveexec_b64 s[56:57], vcc
	s_cbranch_execz .LBB0_121
.LBB0_127:                              ;   in Loop: Header=BB0_122 Depth=4
	s_waitcnt vmcnt(0)
	v_cmp_eq_u32_e32 vcc, v32, v17
	v_cmp_eq_u32_e64 s[20:21], v32, v19
	s_and_b64 s[20:21], vcc, s[20:21]
	s_orn2_b64 s[20:21], s[20:21], exec
	s_branch .LBB0_121
.LBB0_128:                              ;   in Loop: Header=BB0_114 Depth=3
	s_or_b64 exec, exec, s[54:55]
.LBB0_129:                              ;   in Loop: Header=BB0_114 Depth=3
	s_or_b64 exec, exec, s[52:53]
.LBB0_130:                              ;   in Loop: Header=BB0_114 Depth=3
	s_or_b64 exec, exec, s[50:51]
	v_lshlrev_b32_e32 v36, 3, v44
	s_waitcnt vmcnt(1)
	v_alignbit_b32 v54, v22, v2, v36
	s_waitcnt vmcnt(0)
	v_cmp_ne_u16_sdwa s[20:21], v16, v55 src0_sel:BYTE_0 src1_sel:DWORD
                                        ; implicit-def: $vgpr23
	s_and_saveexec_b64 vcc, s[14:15]
	s_xor_b64 s[50:51], exec, vcc
	s_cbranch_execz .LBB0_148
; %bb.131:                              ;   in Loop: Header=BB0_114 Depth=3
	v_mov_b32_e32 v2, 0
	v_mov_b32_e32 v1, 0
	s_and_saveexec_b64 s[52:53], s[20:21]
	s_cbranch_execz .LBB0_139
; %bb.132:                              ;   in Loop: Header=BB0_114 Depth=3
	v_cmp_ne_u16_sdwa vcc, sext(v16), s65 src0_sel:BYTE_0 src1_sel:DWORD
	v_bfrev_b32_e32 v1, 1
	s_and_saveexec_b64 s[54:55], vcc
	s_cbranch_execz .LBB0_138
; %bb.133:                              ;   in Loop: Header=BB0_114 Depth=3
	v_and_b32_e32 v1, 0x7c, v16
	v_and_b32_e32 v23, 3, v16
	v_cmp_ne_u32_e32 vcc, s66, v1
                                        ; implicit-def: $vgpr1
	s_and_saveexec_b64 s[56:57], vcc
	s_xor_b64 s[56:57], exec, s[56:57]
	s_cbranch_execz .LBB0_135
; %bb.134:                              ;   in Loop: Header=BB0_114 Depth=3
	v_ffbh_u32_e32 v24, v23
	v_min_u32_e32 v26, 32, v24
	v_subrev_u32_e32 v24, 29, v26
	v_bfe_u32 v1, v16, 2, 5
	v_lshlrev_b64 v[24:25], v24, v[16:17]
	v_sub_u32_e32 v25, 30, v26
	v_cmp_eq_u32_e32 vcc, 0, v1
	v_and_b32_e32 v24, 3, v24
	v_cndmask_b32_e32 v1, v1, v25, vcc
	v_cndmask_b32_e32 v23, v23, v24, vcc
	v_lshlrev_b32_e32 v24, 24, v16
	v_lshl_add_u32 v1, v1, 23, v47
	v_and_or_b32 v1, v24, s67, v1
	v_lshl_or_b32 v1, v23, 21, v1
                                        ; implicit-def: $vgpr23
.LBB0_135:                              ;   in Loop: Header=BB0_114 Depth=3
	s_andn2_saveexec_b64 s[56:57], s[56:57]
; %bb.136:                              ;   in Loop: Header=BB0_114 Depth=3
	v_cmp_gt_i16_sdwa vcc, sext(v16), v6 src0_sel:BYTE_0 src1_sel:DWORD
	v_cndmask_b32_e32 v1, v7, v10, vcc
	v_cmp_eq_u32_e32 vcc, 0, v23
	v_cndmask_b32_e32 v1, v11, v1, vcc
; %bb.137:                              ;   in Loop: Header=BB0_114 Depth=3
	s_or_b64 exec, exec, s[56:57]
.LBB0_138:                              ;   in Loop: Header=BB0_114 Depth=3
	s_or_b64 exec, exec, s[54:55]
.LBB0_139:                              ;   in Loop: Header=BB0_114 Depth=3
	s_or_b64 exec, exec, s[52:53]
	v_cmp_ne_u16_sdwa vcc, sext(v54), v55 src0_sel:BYTE_0 src1_sel:DWORD
	s_and_saveexec_b64 s[52:53], vcc
	s_cbranch_execz .LBB0_147
; %bb.140:                              ;   in Loop: Header=BB0_114 Depth=3
	v_cmp_ne_u16_sdwa vcc, sext(v54), s65 src0_sel:BYTE_0 src1_sel:DWORD
	v_bfrev_b32_e32 v2, 1
	s_and_saveexec_b64 s[54:55], vcc
	s_cbranch_execz .LBB0_146
; %bb.141:                              ;   in Loop: Header=BB0_114 Depth=3
	v_and_b32_e32 v2, 0x7c, v54
	v_and_b32_e32 v23, 3, v54
	v_cmp_ne_u32_e32 vcc, s66, v2
                                        ; implicit-def: $vgpr2
	s_and_saveexec_b64 s[56:57], vcc
	s_xor_b64 s[56:57], exec, s[56:57]
	s_cbranch_execz .LBB0_143
; %bb.142:                              ;   in Loop: Header=BB0_114 Depth=3
	v_ffbh_u32_e32 v24, v23
	v_min_u32_e32 v26, 32, v24
	v_subrev_u32_e32 v24, 29, v26
	v_bfe_u32 v2, v54, 2, 5
	v_lshlrev_b64 v[24:25], v24, v[54:55]
	v_sub_u32_e32 v25, 30, v26
	v_cmp_eq_u32_e32 vcc, 0, v2
	v_and_b32_e32 v24, 3, v24
	v_cndmask_b32_e32 v2, v2, v25, vcc
	v_cndmask_b32_e32 v23, v23, v24, vcc
	v_lshlrev_b32_e32 v24, 24, v54
	v_lshl_add_u32 v2, v2, 23, v47
	v_and_or_b32 v2, v24, s67, v2
	v_lshl_or_b32 v2, v23, 21, v2
                                        ; implicit-def: $vgpr23
.LBB0_143:                              ;   in Loop: Header=BB0_114 Depth=3
	s_andn2_saveexec_b64 s[56:57], s[56:57]
; %bb.144:                              ;   in Loop: Header=BB0_114 Depth=3
	v_cmp_gt_i16_sdwa vcc, sext(v54), v6 src0_sel:BYTE_0 src1_sel:DWORD
	v_cndmask_b32_e32 v2, v7, v10, vcc
	v_cmp_eq_u32_e32 vcc, 0, v23
	v_cndmask_b32_e32 v2, v11, v2, vcc
; %bb.145:                              ;   in Loop: Header=BB0_114 Depth=3
	s_or_b64 exec, exec, s[56:57]
.LBB0_146:                              ;   in Loop: Header=BB0_114 Depth=3
	s_or_b64 exec, exec, s[54:55]
.LBB0_147:                              ;   in Loop: Header=BB0_114 Depth=3
	s_or_b64 exec, exec, s[52:53]
	v_max_f32_e32 v2, v2, v2
	v_max_f32_e32 v1, v1, v1
	;; [unrolled: 1-line block ×3, first 2 shown]
.LBB0_148:                              ;   in Loop: Header=BB0_114 Depth=3
	s_andn2_saveexec_b64 s[50:51], s[50:51]
	s_cbranch_execz .LBB0_166
; %bb.149:                              ;   in Loop: Header=BB0_114 Depth=3
	v_mov_b32_e32 v2, 0
	v_mov_b32_e32 v1, 0
	s_and_saveexec_b64 s[52:53], s[20:21]
	s_cbranch_execz .LBB0_157
; %bb.150:                              ;   in Loop: Header=BB0_114 Depth=3
	v_cmp_ne_u16_sdwa vcc, sext(v16), s65 src0_sel:BYTE_0 src1_sel:DWORD
	v_bfrev_b32_e32 v1, 1
	s_and_saveexec_b64 s[20:21], vcc
	s_cbranch_execz .LBB0_156
; %bb.151:                              ;   in Loop: Header=BB0_114 Depth=3
	v_and_b32_e32 v1, 0x7c, v16
	v_and_b32_e32 v23, 3, v16
	v_cmp_ne_u32_e32 vcc, s66, v1
                                        ; implicit-def: $vgpr1
	s_and_saveexec_b64 s[54:55], vcc
	s_xor_b64 s[54:55], exec, s[54:55]
	s_cbranch_execz .LBB0_153
; %bb.152:                              ;   in Loop: Header=BB0_114 Depth=3
	v_ffbh_u32_e32 v24, v23
	v_min_u32_e32 v26, 32, v24
	v_bfe_u32 v1, v16, 2, 5
	v_subrev_u32_e32 v24, 29, v26
	v_lshlrev_b64 v[24:25], v24, v[16:17]
	v_sub_u32_e32 v17, 30, v26
	v_cmp_eq_u32_e32 vcc, 0, v1
	v_and_b32_e32 v24, 3, v24
	v_cndmask_b32_e32 v1, v1, v17, vcc
	v_cndmask_b32_e32 v17, v23, v24, vcc
	v_lshlrev_b32_e32 v23, 24, v16
	v_lshl_add_u32 v1, v1, 23, v47
	v_and_or_b32 v1, v23, s67, v1
	v_lshl_or_b32 v1, v17, 21, v1
                                        ; implicit-def: $vgpr23
.LBB0_153:                              ;   in Loop: Header=BB0_114 Depth=3
	s_andn2_saveexec_b64 s[54:55], s[54:55]
; %bb.154:                              ;   in Loop: Header=BB0_114 Depth=3
	v_cmp_gt_i16_sdwa vcc, sext(v16), v6 src0_sel:BYTE_0 src1_sel:DWORD
	v_cndmask_b32_e32 v1, v7, v10, vcc
	v_cmp_eq_u32_e32 vcc, 0, v23
	v_cndmask_b32_e32 v1, v11, v1, vcc
; %bb.155:                              ;   in Loop: Header=BB0_114 Depth=3
	s_or_b64 exec, exec, s[54:55]
.LBB0_156:                              ;   in Loop: Header=BB0_114 Depth=3
	s_or_b64 exec, exec, s[20:21]
.LBB0_157:                              ;   in Loop: Header=BB0_114 Depth=3
	s_or_b64 exec, exec, s[52:53]
	v_cmp_ne_u16_sdwa vcc, sext(v54), v55 src0_sel:BYTE_0 src1_sel:DWORD
	s_and_saveexec_b64 s[20:21], vcc
	s_cbranch_execz .LBB0_165
; %bb.158:                              ;   in Loop: Header=BB0_114 Depth=3
	v_cmp_ne_u16_sdwa vcc, sext(v54), s65 src0_sel:BYTE_0 src1_sel:DWORD
	v_bfrev_b32_e32 v2, 1
	s_and_saveexec_b64 s[52:53], vcc
	s_cbranch_execz .LBB0_164
; %bb.159:                              ;   in Loop: Header=BB0_114 Depth=3
	v_and_b32_e32 v2, 0x7c, v54
	v_and_b32_e32 v17, 3, v54
	v_cmp_ne_u32_e32 vcc, s66, v2
                                        ; implicit-def: $vgpr2
	s_and_saveexec_b64 s[54:55], vcc
	s_xor_b64 s[54:55], exec, s[54:55]
	s_cbranch_execz .LBB0_161
; %bb.160:                              ;   in Loop: Header=BB0_114 Depth=3
	v_ffbh_u32_e32 v23, v17
	v_bfe_u32 v2, v54, 2, 5
	v_min_u32_e32 v23, 32, v23
	v_subrev_u32_e32 v24, 29, v23
	v_sub_u32_e32 v23, 30, v23
	v_cmp_eq_u32_e32 vcc, 0, v2
	v_lshlrev_b64 v[24:25], v24, v[54:55]
	v_cndmask_b32_e32 v2, v2, v23, vcc
	v_and_b32_e32 v24, 3, v24
	v_lshlrev_b32_e32 v23, 24, v54
	v_lshl_add_u32 v2, v2, 23, v47
	v_cndmask_b32_e32 v17, v17, v24, vcc
	v_and_or_b32 v2, v23, s67, v2
	v_lshl_or_b32 v2, v17, 21, v2
                                        ; implicit-def: $vgpr17
.LBB0_161:                              ;   in Loop: Header=BB0_114 Depth=3
	s_andn2_saveexec_b64 s[54:55], s[54:55]
; %bb.162:                              ;   in Loop: Header=BB0_114 Depth=3
	v_cmp_gt_i16_sdwa vcc, sext(v54), v6 src0_sel:BYTE_0 src1_sel:DWORD
	v_cndmask_b32_e32 v2, v7, v10, vcc
	v_cmp_eq_u32_e32 vcc, 0, v17
	v_cndmask_b32_e32 v2, v11, v2, vcc
; %bb.163:                              ;   in Loop: Header=BB0_114 Depth=3
	s_or_b64 exec, exec, s[54:55]
.LBB0_164:                              ;   in Loop: Header=BB0_114 Depth=3
	s_or_b64 exec, exec, s[52:53]
.LBB0_165:                              ;   in Loop: Header=BB0_114 Depth=3
	s_or_b64 exec, exec, s[20:21]
	v_max_f32_e32 v2, v2, v2
	v_max_f32_e32 v1, v1, v1
	v_min_f32_e32 v23, v1, v2
.LBB0_166:                              ;   in Loop: Header=BB0_114 Depth=3
	s_or_b64 exec, exec, s[50:51]
	v_and_b32_sdwa v2, v23, s68 dst_sel:DWORD dst_unused:UNUSED_PAD src0_sel:BYTE_3 src1_sel:DWORD
	v_and_b32_e32 v26, 0x7f800000, v23
	v_mov_b32_e32 v27, v55
	v_and_b32_e32 v24, 0x7fffff, v23
	v_mov_b32_e32 v25, v55
	v_or_b32_e32 v1, 0x7b, v2
	v_cmp_ne_u64_e32 vcc, s[40:41], v[26:27]
	s_and_saveexec_b64 s[20:21], vcc
	s_xor_b64 s[50:51], exec, s[20:21]
	s_cbranch_execz .LBB0_176
; %bb.167:                              ;   in Loop: Header=BB0_114 Depth=3
	v_and_b32_e32 v26, 0x7fffffff, v23
	v_mov_b32_e32 v27, v55
	v_cmp_gt_u64_e32 vcc, s[42:43], v[26:27]
	s_and_saveexec_b64 s[52:53], vcc
	s_cbranch_execz .LBB0_175
; %bb.168:                              ;   in Loop: Header=BB0_114 Depth=3
	v_cmp_ne_u32_e32 vcc, 0, v23
	v_mov_b32_e32 v1, 0
	s_and_saveexec_b64 s[54:55], vcc
	s_cbranch_execz .LBB0_174
; %bb.169:                              ;   in Loop: Header=BB0_114 Depth=3
	v_bfe_u32 v1, v23, 23, 8
	v_sub_u32_e32 v23, 0x71, v1
	v_cmp_gt_u32_e32 vcc, s69, v1
	v_add_u32_e32 v17, 0xffffff81, v1
	v_cndmask_b32_e32 v23, 0, v23, vcc
	v_cmp_eq_u32_e32 vcc, 0, v1
	v_cndmask_b32_e32 v1, v17, v30, vcc
	v_cndmask_b32_e32 v17, v23, v48, vcc
	v_or_b32_e32 v26, 0x800000, v24
	v_add_u32_e32 v23, 21, v17
	v_cndmask_b32_e32 v24, v26, v24, vcc
	v_lshlrev_b64 v[26:27], v23, -1
	v_not_b32_e32 v23, v27
	v_not_b32_e32 v26, v26
	v_and_b32_e32 v27, 0, v23
	v_and_b32_e32 v26, v24, v26
	v_add_u32_e32 v23, 20, v17
	v_lshrrev_b64 v[24:25], v17, v[24:25]
	v_lshlrev_b64 v[40:41], v23, 1
	v_lshrrev_b32_e32 v23, 23, v24
	v_add3_u32 v23, v17, v1, v23
	v_bfe_u32 v1, v24, 21, 1
	v_add_u32_e32 v1, -1, v1
	v_cmp_eq_u64_e32 vcc, v[26:27], v[40:41]
	v_cndmask_b32_e32 v1, 0, v1, vcc
	v_add_u32_e32 v1, v1, v24
	v_and_b32_e32 v1, 0x1fffff, v1
	v_add_co_u32_e32 v24, vcc, v1, v24
	v_add_u32_e32 v17, 14, v23
	v_addc_co_u32_e32 v25, vcc, 0, v25, vcc
	v_cmp_ne_u32_e32 vcc, 0, v17
                                        ; implicit-def: $vgpr1
	s_and_saveexec_b64 s[20:21], vcc
	s_xor_b64 s[20:21], exec, s[20:21]
; %bb.170:                              ;   in Loop: Header=BB0_114 Depth=3
	v_add_u32_e32 v1, 15, v23
	v_cmp_lt_u64_e32 vcc, s[44:45], v[24:25]
	v_cndmask_b32_e32 v1, v17, v1, vcc
	v_cndmask_b32_e64 v17, 0, 1, vcc
	v_lshrrev_b64 v[24:25], v17, v[24:25]
; %bb.171:                              ;   in Loop: Header=BB0_114 Depth=3
	s_andn2_saveexec_b64 s[20:21], s[20:21]
; %bb.172:                              ;   in Loop: Header=BB0_114 Depth=3
	v_bfe_u32 v1, v24, 23, 1
; %bb.173:                              ;   in Loop: Header=BB0_114 Depth=3
	s_or_b64 exec, exec, s[20:21]
	v_lshrrev_b64 v[24:25], 21, v[24:25]
	v_cmp_gt_i32_e32 vcc, 32, v1
	v_cndmask_b32_e32 v25, 0, v25, vcc
	v_cndmask_b32_e32 v24, 3, v24, vcc
	v_cmp_eq_u32_e32 vcc, 0, v1
	v_min_i32_e32 v1, 31, v1
	v_cmp_eq_u64_e64 s[20:21], 0, v[24:25]
	v_lshlrev_b32_e32 v1, 2, v1
	v_and_or_b32 v1, v24, 3, v1
	s_and_b64 s[20:21], vcc, s[20:21]
	v_cndmask_b32_e64 v1, v1, 0, s[20:21]
	v_or_b32_e32 v1, v1, v2
.LBB0_174:                              ;   in Loop: Header=BB0_114 Depth=3
	s_or_b64 exec, exec, s[54:55]
.LBB0_175:                              ;   in Loop: Header=BB0_114 Depth=3
	s_or_b64 exec, exec, s[52:53]
                                        ; implicit-def: $vgpr23
                                        ; implicit-def: $vgpr24_vgpr25
.LBB0_176:                              ;   in Loop: Header=BB0_114 Depth=3
	s_andn2_saveexec_b64 s[20:21], s[50:51]
; %bb.177:                              ;   in Loop: Header=BB0_114 Depth=3
	v_or_b32_sdwa v2, v23, s70 dst_sel:DWORD dst_unused:UNUSED_PAD src0_sel:BYTE_3 src1_sel:DWORD
	v_cmp_eq_u64_e32 vcc, 0, v[24:25]
	v_cndmask_b32_e32 v1, v2, v1, vcc
; %bb.178:                              ;   in Loop: Header=BB0_114 Depth=3
	s_or_b64 exec, exec, s[20:21]
	v_lshrrev_b16_e32 v24, 8, v16
	v_lshrrev_b16_e32 v40, 8, v54
	v_cmp_ne_u16_e32 vcc, 0, v24
                                        ; implicit-def: $vgpr17
	s_and_saveexec_b64 s[20:21], s[14:15]
	s_xor_b64 s[50:51], exec, s[20:21]
	s_cbranch_execz .LBB0_196
; %bb.179:                              ;   in Loop: Header=BB0_114 Depth=3
	v_mov_b32_e32 v17, 0
	v_mov_b32_e32 v2, 0
	s_and_saveexec_b64 s[52:53], vcc
	s_cbranch_execz .LBB0_187
; %bb.180:                              ;   in Loop: Header=BB0_114 Depth=3
	v_cmp_ne_u16_e64 s[20:21], s68, v24
	v_bfrev_b32_e32 v2, 1
	s_and_saveexec_b64 s[54:55], s[20:21]
	s_cbranch_execz .LBB0_186
; %bb.181:                              ;   in Loop: Header=BB0_114 Depth=3
	v_and_b32_e32 v2, 0x7c, v24
	v_and_b32_e32 v23, 3, v24
	v_cmp_ne_u32_e64 s[20:21], s66, v2
                                        ; implicit-def: $vgpr2
	s_and_saveexec_b64 s[56:57], s[20:21]
	s_xor_b64 s[56:57], exec, s[56:57]
	s_cbranch_execz .LBB0_183
; %bb.182:                              ;   in Loop: Header=BB0_114 Depth=3
	v_ffbh_u32_e32 v26, v23
	v_min_u32_e32 v26, 32, v26
	v_mov_b32_e32 v25, v55
	v_subrev_u32_e32 v27, 29, v26
	v_bfe_u32 v2, v24, 2, 5
	v_lshlrev_b64 v[24:25], v27, v[24:25]
	v_sub_u32_e32 v25, 30, v26
	v_cmp_eq_u32_e64 s[20:21], 0, v2
	v_and_b32_e32 v24, 3, v24
	v_cndmask_b32_e64 v2, v2, v25, s[20:21]
	v_cndmask_b32_e64 v23, v23, v24, s[20:21]
	v_lshlrev_b32_e32 v24, 16, v16
	v_lshl_add_u32 v2, v2, 23, v47
	v_and_or_b32 v2, v24, s67, v2
	v_lshl_or_b32 v2, v23, 21, v2
                                        ; implicit-def: $vgpr23
.LBB0_183:                              ;   in Loop: Header=BB0_114 Depth=3
	s_andn2_saveexec_b64 s[56:57], s[56:57]
; %bb.184:                              ;   in Loop: Header=BB0_114 Depth=3
	v_cmp_lt_i16_e64 s[20:21], -1, v16
	v_cndmask_b32_e64 v2, v7, v10, s[20:21]
	v_cmp_eq_u32_e64 s[20:21], 0, v23
	v_cndmask_b32_e64 v2, v11, v2, s[20:21]
; %bb.185:                              ;   in Loop: Header=BB0_114 Depth=3
	s_or_b64 exec, exec, s[56:57]
.LBB0_186:                              ;   in Loop: Header=BB0_114 Depth=3
	s_or_b64 exec, exec, s[54:55]
.LBB0_187:                              ;   in Loop: Header=BB0_114 Depth=3
	s_or_b64 exec, exec, s[52:53]
	v_cmp_ne_u16_e64 s[20:21], 0, v40
	s_and_saveexec_b64 s[52:53], s[20:21]
	s_cbranch_execz .LBB0_195
; %bb.188:                              ;   in Loop: Header=BB0_114 Depth=3
	v_cmp_ne_u16_e64 s[20:21], s68, v40
	v_bfrev_b32_e32 v17, 1
	s_and_saveexec_b64 s[54:55], s[20:21]
	s_cbranch_execz .LBB0_194
; %bb.189:                              ;   in Loop: Header=BB0_114 Depth=3
	v_and_b32_e32 v17, 0x7c, v40
	v_and_b32_e32 v23, 3, v40
	v_cmp_ne_u32_e64 s[20:21], s66, v17
                                        ; implicit-def: $vgpr17
	s_and_saveexec_b64 s[56:57], s[20:21]
	s_xor_b64 s[56:57], exec, s[56:57]
	s_cbranch_execz .LBB0_191
; %bb.190:                              ;   in Loop: Header=BB0_114 Depth=3
	v_ffbh_u32_e32 v24, v23
	v_min_u32_e32 v26, 32, v24
	v_mov_b32_e32 v41, v55
	v_subrev_u32_e32 v24, 29, v26
	v_bfe_u32 v17, v40, 2, 5
	v_lshlrev_b64 v[24:25], v24, v[40:41]
	v_sub_u32_e32 v25, 30, v26
	v_cmp_eq_u32_e64 s[20:21], 0, v17
	v_and_b32_e32 v24, 3, v24
	v_cndmask_b32_e64 v17, v17, v25, s[20:21]
	v_cndmask_b32_e64 v23, v23, v24, s[20:21]
	v_lshlrev_b32_e32 v24, 16, v54
	v_lshl_add_u32 v17, v17, 23, v47
	v_and_or_b32 v17, v24, s67, v17
	v_lshl_or_b32 v17, v23, 21, v17
                                        ; implicit-def: $vgpr23
.LBB0_191:                              ;   in Loop: Header=BB0_114 Depth=3
	s_andn2_saveexec_b64 s[56:57], s[56:57]
; %bb.192:                              ;   in Loop: Header=BB0_114 Depth=3
	v_cmp_lt_i16_e64 s[20:21], -1, v54
	v_cndmask_b32_e64 v17, v7, v10, s[20:21]
	v_cmp_eq_u32_e64 s[20:21], 0, v23
	v_cndmask_b32_e64 v17, v11, v17, s[20:21]
; %bb.193:                              ;   in Loop: Header=BB0_114 Depth=3
	s_or_b64 exec, exec, s[56:57]
.LBB0_194:                              ;   in Loop: Header=BB0_114 Depth=3
	s_or_b64 exec, exec, s[54:55]
.LBB0_195:                              ;   in Loop: Header=BB0_114 Depth=3
	s_or_b64 exec, exec, s[52:53]
	v_max_f32_e32 v17, v17, v17
	v_max_f32_e32 v2, v2, v2
	v_max_f32_e32 v17, v2, v17
                                        ; implicit-def: $vgpr40
                                        ; implicit-def: $vgpr24
.LBB0_196:                              ;   in Loop: Header=BB0_114 Depth=3
	s_andn2_saveexec_b64 s[20:21], s[50:51]
	s_cbranch_execz .LBB0_214
; %bb.197:                              ;   in Loop: Header=BB0_114 Depth=3
	v_mov_b32_e32 v17, 0
	v_mov_b32_e32 v2, 0
	s_and_saveexec_b64 s[50:51], vcc
	s_cbranch_execz .LBB0_205
; %bb.198:                              ;   in Loop: Header=BB0_114 Depth=3
	v_cmp_ne_u16_e32 vcc, s68, v24
	v_bfrev_b32_e32 v2, 1
	s_and_saveexec_b64 s[52:53], vcc
	s_cbranch_execz .LBB0_204
; %bb.199:                              ;   in Loop: Header=BB0_114 Depth=3
	v_and_b32_e32 v2, 0x7c, v24
	v_and_b32_e32 v23, 3, v24
	v_cmp_ne_u32_e32 vcc, s66, v2
                                        ; implicit-def: $vgpr2
	s_and_saveexec_b64 s[54:55], vcc
	s_xor_b64 s[54:55], exec, s[54:55]
	s_cbranch_execz .LBB0_201
; %bb.200:                              ;   in Loop: Header=BB0_114 Depth=3
	v_ffbh_u32_e32 v26, v23
	v_min_u32_e32 v26, 32, v26
	v_mov_b32_e32 v25, v55
	v_subrev_u32_e32 v27, 29, v26
	v_bfe_u32 v2, v24, 2, 5
	v_lshlrev_b64 v[24:25], v27, v[24:25]
	v_sub_u32_e32 v25, 30, v26
	v_cmp_eq_u32_e32 vcc, 0, v2
	v_and_b32_e32 v24, 3, v24
	v_cndmask_b32_e32 v2, v2, v25, vcc
	v_cndmask_b32_e32 v23, v23, v24, vcc
	v_lshlrev_b32_e32 v24, 16, v16
	v_lshl_add_u32 v2, v2, 23, v47
	v_and_or_b32 v2, v24, s67, v2
	v_lshl_or_b32 v2, v23, 21, v2
                                        ; implicit-def: $vgpr23
.LBB0_201:                              ;   in Loop: Header=BB0_114 Depth=3
	s_andn2_saveexec_b64 s[54:55], s[54:55]
; %bb.202:                              ;   in Loop: Header=BB0_114 Depth=3
	v_cmp_lt_i16_e32 vcc, -1, v16
	v_cndmask_b32_e32 v2, v7, v10, vcc
	v_cmp_eq_u32_e32 vcc, 0, v23
	v_cndmask_b32_e32 v2, v11, v2, vcc
; %bb.203:                              ;   in Loop: Header=BB0_114 Depth=3
	s_or_b64 exec, exec, s[54:55]
.LBB0_204:                              ;   in Loop: Header=BB0_114 Depth=3
	s_or_b64 exec, exec, s[52:53]
.LBB0_205:                              ;   in Loop: Header=BB0_114 Depth=3
	s_or_b64 exec, exec, s[50:51]
	v_cmp_ne_u16_e32 vcc, 0, v40
	s_and_saveexec_b64 s[50:51], vcc
	s_cbranch_execz .LBB0_213
; %bb.206:                              ;   in Loop: Header=BB0_114 Depth=3
	v_cmp_ne_u16_e32 vcc, s68, v40
	v_bfrev_b32_e32 v17, 1
	s_and_saveexec_b64 s[52:53], vcc
	s_cbranch_execz .LBB0_212
; %bb.207:                              ;   in Loop: Header=BB0_114 Depth=3
	v_and_b32_e32 v17, 0x7c, v40
	v_and_b32_e32 v23, 3, v40
	v_cmp_ne_u32_e32 vcc, s66, v17
                                        ; implicit-def: $vgpr17
	s_and_saveexec_b64 s[54:55], vcc
	s_xor_b64 s[54:55], exec, s[54:55]
	s_cbranch_execz .LBB0_209
; %bb.208:                              ;   in Loop: Header=BB0_114 Depth=3
	v_ffbh_u32_e32 v24, v23
	v_min_u32_e32 v26, 32, v24
	v_mov_b32_e32 v41, v55
	v_subrev_u32_e32 v24, 29, v26
	v_bfe_u32 v17, v40, 2, 5
	v_lshlrev_b64 v[24:25], v24, v[40:41]
	v_sub_u32_e32 v25, 30, v26
	v_cmp_eq_u32_e32 vcc, 0, v17
	v_and_b32_e32 v24, 3, v24
	v_cndmask_b32_e32 v17, v17, v25, vcc
	v_cndmask_b32_e32 v23, v23, v24, vcc
	v_lshlrev_b32_e32 v24, 16, v54
	v_lshl_add_u32 v17, v17, 23, v47
	v_and_or_b32 v17, v24, s67, v17
	v_lshl_or_b32 v17, v23, 21, v17
                                        ; implicit-def: $vgpr23
.LBB0_209:                              ;   in Loop: Header=BB0_114 Depth=3
	s_andn2_saveexec_b64 s[54:55], s[54:55]
; %bb.210:                              ;   in Loop: Header=BB0_114 Depth=3
	v_cmp_lt_i16_e32 vcc, -1, v54
	v_cndmask_b32_e32 v17, v7, v10, vcc
	v_cmp_eq_u32_e32 vcc, 0, v23
	v_cndmask_b32_e32 v17, v11, v17, vcc
; %bb.211:                              ;   in Loop: Header=BB0_114 Depth=3
	s_or_b64 exec, exec, s[54:55]
.LBB0_212:                              ;   in Loop: Header=BB0_114 Depth=3
	s_or_b64 exec, exec, s[52:53]
.LBB0_213:                              ;   in Loop: Header=BB0_114 Depth=3
	s_or_b64 exec, exec, s[50:51]
	v_max_f32_e32 v17, v17, v17
	v_max_f32_e32 v2, v2, v2
	v_min_f32_e32 v17, v2, v17
.LBB0_214:                              ;   in Loop: Header=BB0_114 Depth=3
	s_or_b64 exec, exec, s[20:21]
	v_and_b32_sdwa v2, v17, s68 dst_sel:DWORD dst_unused:UNUSED_PAD src0_sel:BYTE_3 src1_sel:DWORD
	v_and_b32_e32 v40, 0x7f800000, v17
	v_mov_b32_e32 v41, v55
	v_and_b32_e32 v24, 0x7fffff, v17
	v_mov_b32_e32 v25, v55
	v_or_b32_e32 v26, 0x7b, v2
	v_cmp_ne_u64_e32 vcc, s[40:41], v[40:41]
	s_and_saveexec_b64 s[20:21], vcc
	s_xor_b64 s[50:51], exec, s[20:21]
	s_cbranch_execz .LBB0_224
; %bb.215:                              ;   in Loop: Header=BB0_114 Depth=3
	v_and_b32_e32 v40, 0x7fffffff, v17
	v_mov_b32_e32 v41, v55
	v_cmp_gt_u64_e32 vcc, s[42:43], v[40:41]
	s_and_saveexec_b64 s[52:53], vcc
	s_cbranch_execz .LBB0_223
; %bb.216:                              ;   in Loop: Header=BB0_114 Depth=3
	v_cmp_ne_u32_e32 vcc, 0, v17
	v_mov_b32_e32 v26, 0
	s_and_saveexec_b64 s[54:55], vcc
	s_cbranch_execz .LBB0_222
; %bb.217:                              ;   in Loop: Header=BB0_114 Depth=3
	v_bfe_u32 v17, v17, 23, 8
	v_sub_u32_e32 v26, 0x71, v17
	v_cmp_gt_u32_e32 vcc, s69, v17
	v_add_u32_e32 v23, 0xffffff81, v17
	v_cndmask_b32_e32 v26, 0, v26, vcc
	v_cmp_eq_u32_e32 vcc, 0, v17
	v_cndmask_b32_e32 v17, v23, v30, vcc
	v_cndmask_b32_e32 v23, v26, v48, vcc
	v_or_b32_e32 v27, 0x800000, v24
	v_add_u32_e32 v26, 21, v23
	v_cndmask_b32_e32 v24, v27, v24, vcc
	v_lshlrev_b64 v[26:27], v26, -1
	v_not_b32_e32 v26, v26
	v_and_b32_e32 v40, v24, v26
	v_add_u32_e32 v26, 20, v23
	v_lshrrev_b64 v[24:25], v23, v[24:25]
	v_not_b32_e32 v27, v27
	v_lshlrev_b64 v[50:51], v26, 1
	v_lshrrev_b32_e32 v26, 23, v24
	v_and_b32_e32 v41, 0, v27
	v_add3_u32 v26, v23, v17, v26
	v_bfe_u32 v17, v24, 21, 1
	v_add_u32_e32 v17, -1, v17
	v_cmp_eq_u64_e32 vcc, v[40:41], v[50:51]
	v_cndmask_b32_e32 v17, 0, v17, vcc
	v_add_u32_e32 v17, v17, v24
	v_and_b32_e32 v17, 0x1fffff, v17
	v_add_co_u32_e32 v24, vcc, v17, v24
	v_add_u32_e32 v23, 14, v26
	v_addc_co_u32_e32 v25, vcc, 0, v25, vcc
	v_cmp_ne_u32_e32 vcc, 0, v23
                                        ; implicit-def: $vgpr17
	s_and_saveexec_b64 s[20:21], vcc
	s_xor_b64 s[20:21], exec, s[20:21]
; %bb.218:                              ;   in Loop: Header=BB0_114 Depth=3
	v_add_u32_e32 v17, 15, v26
	v_cmp_lt_u64_e32 vcc, s[44:45], v[24:25]
	v_cndmask_b32_e32 v17, v23, v17, vcc
	v_cndmask_b32_e64 v23, 0, 1, vcc
	v_lshrrev_b64 v[24:25], v23, v[24:25]
; %bb.219:                              ;   in Loop: Header=BB0_114 Depth=3
	s_andn2_saveexec_b64 s[20:21], s[20:21]
; %bb.220:                              ;   in Loop: Header=BB0_114 Depth=3
	v_bfe_u32 v17, v24, 23, 1
; %bb.221:                              ;   in Loop: Header=BB0_114 Depth=3
	s_or_b64 exec, exec, s[20:21]
	v_lshrrev_b64 v[24:25], 21, v[24:25]
	v_cmp_gt_i32_e32 vcc, 32, v17
	v_cndmask_b32_e32 v25, 0, v25, vcc
	v_cndmask_b32_e32 v24, 3, v24, vcc
	v_cmp_eq_u32_e32 vcc, 0, v17
	v_min_i32_e32 v17, 31, v17
	v_cmp_eq_u64_e64 s[20:21], 0, v[24:25]
	v_lshlrev_b32_e32 v17, 2, v17
	v_and_or_b32 v17, v24, 3, v17
	s_and_b64 s[20:21], vcc, s[20:21]
	v_cndmask_b32_e64 v17, v17, 0, s[20:21]
	v_or_b32_e32 v26, v17, v2
.LBB0_222:                              ;   in Loop: Header=BB0_114 Depth=3
	s_or_b64 exec, exec, s[54:55]
.LBB0_223:                              ;   in Loop: Header=BB0_114 Depth=3
	s_or_b64 exec, exec, s[52:53]
                                        ; implicit-def: $vgpr17
                                        ; implicit-def: $vgpr24_vgpr25
.LBB0_224:                              ;   in Loop: Header=BB0_114 Depth=3
	s_andn2_saveexec_b64 s[20:21], s[50:51]
; %bb.225:                              ;   in Loop: Header=BB0_114 Depth=3
	v_or_b32_sdwa v2, v17, s70 dst_sel:DWORD dst_unused:UNUSED_PAD src0_sel:BYTE_3 src1_sel:DWORD
	v_cmp_eq_u64_e32 vcc, 0, v[24:25]
	v_cndmask_b32_e32 v26, v2, v26, vcc
; %bb.226:                              ;   in Loop: Header=BB0_114 Depth=3
	s_or_b64 exec, exec, s[20:21]
	v_lshrrev_b32_e32 v40, 16, v16
	v_lshrrev_b32_e32 v2, 16, v54
	v_cmp_ne_u16_sdwa s[20:21], v40, v55 src0_sel:BYTE_0 src1_sel:DWORD
                                        ; implicit-def: $vgpr17
	s_and_saveexec_b64 vcc, s[14:15]
	s_xor_b64 s[50:51], exec, vcc
	s_cbranch_execz .LBB0_244
; %bb.227:                              ;   in Loop: Header=BB0_114 Depth=3
	v_mov_b32_e32 v23, 0
	v_mov_b32_e32 v17, 0
	s_and_saveexec_b64 s[52:53], s[20:21]
	s_cbranch_execz .LBB0_235
; %bb.228:                              ;   in Loop: Header=BB0_114 Depth=3
	v_cmp_ne_u16_sdwa vcc, v40, s68 src0_sel:BYTE_0 src1_sel:DWORD
	v_bfrev_b32_e32 v17, 1
	s_and_saveexec_b64 s[54:55], vcc
	s_cbranch_execz .LBB0_234
; %bb.229:                              ;   in Loop: Header=BB0_114 Depth=3
	v_and_b32_e32 v17, 0x7c0000, v16
	v_bfe_u32 v24, v16, 16, 2
	v_cmp_ne_u32_e32 vcc, s71, v17
                                        ; implicit-def: $vgpr17
	s_and_saveexec_b64 s[56:57], vcc
	s_xor_b64 s[56:57], exec, s[56:57]
	s_cbranch_execz .LBB0_231
; %bb.230:                              ;   in Loop: Header=BB0_114 Depth=3
	v_ffbh_u32_e32 v25, v24
	v_bfe_u32 v17, v16, 18, 5
	v_min_u32_e32 v25, 32, v25
	v_subrev_u32_e32 v27, 29, v25
	v_sub_u32_e32 v25, 30, v25
	v_cmp_eq_u32_e32 vcc, 0, v17
	v_lshlrev_b64 v[50:51], v27, v[40:41]
	v_cndmask_b32_e32 v17, v17, v25, vcc
	v_and_b32_e32 v27, 3, v50
	v_lshlrev_b32_e32 v25, 24, v40
	v_lshl_add_u32 v17, v17, 23, v47
	v_cndmask_b32_e32 v24, v24, v27, vcc
	v_and_or_b32 v17, v25, s67, v17
	v_lshl_or_b32 v17, v24, 21, v17
                                        ; implicit-def: $vgpr24
                                        ; implicit-def: $vgpr40
.LBB0_231:                              ;   in Loop: Header=BB0_114 Depth=3
	s_andn2_saveexec_b64 s[56:57], s[56:57]
; %bb.232:                              ;   in Loop: Header=BB0_114 Depth=3
	v_cmp_gt_i16_sdwa vcc, sext(v40), v6 src0_sel:BYTE_0 src1_sel:DWORD
	v_cndmask_b32_e32 v17, v7, v10, vcc
	v_cmp_eq_u32_e32 vcc, 0, v24
	v_cndmask_b32_e32 v17, v11, v17, vcc
; %bb.233:                              ;   in Loop: Header=BB0_114 Depth=3
	s_or_b64 exec, exec, s[56:57]
.LBB0_234:                              ;   in Loop: Header=BB0_114 Depth=3
	s_or_b64 exec, exec, s[54:55]
.LBB0_235:                              ;   in Loop: Header=BB0_114 Depth=3
	s_or_b64 exec, exec, s[52:53]
	v_and_b32_sdwa v25, v54, s64 dst_sel:DWORD dst_unused:UNUSED_PAD src0_sel:WORD_1 src1_sel:DWORD
	v_lshrrev_b32_e32 v24, 16, v54
	v_cmp_ne_u16_e32 vcc, 0, v25
	s_and_saveexec_b64 s[52:53], vcc
	s_cbranch_execz .LBB0_243
; %bb.236:                              ;   in Loop: Header=BB0_114 Depth=3
	v_cmp_ne_u16_e32 vcc, s68, v25
	v_bfrev_b32_e32 v23, 1
	s_and_saveexec_b64 s[54:55], vcc
	s_cbranch_execz .LBB0_242
; %bb.237:                              ;   in Loop: Header=BB0_114 Depth=3
	v_and_b32_e32 v23, 0x7c0000, v54
	v_bfe_u32 v25, v54, 16, 2
	v_cmp_ne_u32_e32 vcc, s71, v23
                                        ; implicit-def: $vgpr23
	s_and_saveexec_b64 s[56:57], vcc
	s_xor_b64 s[56:57], exec, s[56:57]
	s_cbranch_execz .LBB0_239
; %bb.238:                              ;   in Loop: Header=BB0_114 Depth=3
	v_ffbh_u32_e32 v24, v25
	v_bfe_u32 v23, v54, 18, 5
	v_min_u32_e32 v24, 32, v24
	v_subrev_u32_e32 v27, 29, v24
	v_sub_u32_e32 v24, 30, v24
	v_cmp_eq_u32_e32 vcc, 0, v23
	v_lshlrev_b64 v[50:51], v27, v[2:3]
	v_cndmask_b32_e32 v23, v23, v24, vcc
	v_and_b32_e32 v27, 3, v50
	v_lshlrev_b32_e32 v2, 24, v2
	v_lshl_add_u32 v23, v23, 23, v47
	v_cndmask_b32_e32 v24, v25, v27, vcc
	v_and_or_b32 v2, v2, s67, v23
	v_lshl_or_b32 v23, v24, 21, v2
                                        ; implicit-def: $vgpr25
                                        ; implicit-def: $vgpr24
.LBB0_239:                              ;   in Loop: Header=BB0_114 Depth=3
	s_andn2_saveexec_b64 s[56:57], s[56:57]
; %bb.240:                              ;   in Loop: Header=BB0_114 Depth=3
	v_cmp_gt_i16_sdwa vcc, sext(v24), v6 src0_sel:BYTE_0 src1_sel:DWORD
	v_cndmask_b32_e32 v2, v7, v10, vcc
	v_cmp_eq_u32_e32 vcc, 0, v25
	v_cndmask_b32_e32 v23, v11, v2, vcc
; %bb.241:                              ;   in Loop: Header=BB0_114 Depth=3
	s_or_b64 exec, exec, s[56:57]
.LBB0_242:                              ;   in Loop: Header=BB0_114 Depth=3
	s_or_b64 exec, exec, s[54:55]
.LBB0_243:                              ;   in Loop: Header=BB0_114 Depth=3
	s_or_b64 exec, exec, s[52:53]
	v_max_f32_e32 v2, v23, v23
	v_max_f32_e32 v17, v17, v17
	;; [unrolled: 1-line block ×3, first 2 shown]
                                        ; implicit-def: $vgpr40
                                        ; implicit-def: $vgpr2
.LBB0_244:                              ;   in Loop: Header=BB0_114 Depth=3
	s_andn2_saveexec_b64 s[50:51], s[50:51]
	s_cbranch_execz .LBB0_262
; %bb.245:                              ;   in Loop: Header=BB0_114 Depth=3
	v_mov_b32_e32 v23, 0
	v_mov_b32_e32 v17, 0
	s_and_saveexec_b64 s[52:53], s[20:21]
	s_cbranch_execz .LBB0_253
; %bb.246:                              ;   in Loop: Header=BB0_114 Depth=3
	v_cmp_ne_u16_sdwa vcc, v40, s68 src0_sel:BYTE_0 src1_sel:DWORD
	v_bfrev_b32_e32 v17, 1
	s_and_saveexec_b64 s[20:21], vcc
	s_cbranch_execz .LBB0_252
; %bb.247:                              ;   in Loop: Header=BB0_114 Depth=3
	v_and_b32_e32 v17, 0x7c0000, v16
	v_bfe_u32 v24, v16, 16, 2
	v_cmp_ne_u32_e32 vcc, s71, v17
                                        ; implicit-def: $vgpr17
	s_and_saveexec_b64 s[54:55], vcc
	s_xor_b64 s[54:55], exec, s[54:55]
	s_cbranch_execz .LBB0_249
; %bb.248:                              ;   in Loop: Header=BB0_114 Depth=3
	v_ffbh_u32_e32 v25, v24
	v_bfe_u32 v17, v16, 18, 5
	v_min_u32_e32 v25, 32, v25
	v_subrev_u32_e32 v27, 29, v25
	v_sub_u32_e32 v25, 30, v25
	v_cmp_eq_u32_e32 vcc, 0, v17
	v_lshlrev_b64 v[50:51], v27, v[40:41]
	v_cndmask_b32_e32 v17, v17, v25, vcc
	v_and_b32_e32 v27, 3, v50
	v_lshlrev_b32_e32 v25, 24, v40
	v_lshl_add_u32 v17, v17, 23, v47
	v_cndmask_b32_e32 v24, v24, v27, vcc
	v_and_or_b32 v17, v25, s67, v17
	v_lshl_or_b32 v17, v24, 21, v17
                                        ; implicit-def: $vgpr24
                                        ; implicit-def: $vgpr40
.LBB0_249:                              ;   in Loop: Header=BB0_114 Depth=3
	s_andn2_saveexec_b64 s[54:55], s[54:55]
; %bb.250:                              ;   in Loop: Header=BB0_114 Depth=3
	v_cmp_gt_i16_sdwa vcc, sext(v40), v6 src0_sel:BYTE_0 src1_sel:DWORD
	v_cndmask_b32_e32 v17, v7, v10, vcc
	v_cmp_eq_u32_e32 vcc, 0, v24
	v_cndmask_b32_e32 v17, v11, v17, vcc
; %bb.251:                              ;   in Loop: Header=BB0_114 Depth=3
	s_or_b64 exec, exec, s[54:55]
.LBB0_252:                              ;   in Loop: Header=BB0_114 Depth=3
	s_or_b64 exec, exec, s[20:21]
.LBB0_253:                              ;   in Loop: Header=BB0_114 Depth=3
	s_or_b64 exec, exec, s[52:53]
	v_and_b32_sdwa v25, v54, s64 dst_sel:DWORD dst_unused:UNUSED_PAD src0_sel:WORD_1 src1_sel:DWORD
	v_lshrrev_b32_e32 v24, 16, v54
	v_cmp_ne_u16_e32 vcc, 0, v25
	s_and_saveexec_b64 s[20:21], vcc
	s_cbranch_execz .LBB0_261
; %bb.254:                              ;   in Loop: Header=BB0_114 Depth=3
	v_cmp_ne_u16_e32 vcc, s68, v25
	v_bfrev_b32_e32 v23, 1
	s_and_saveexec_b64 s[52:53], vcc
	s_cbranch_execz .LBB0_260
; %bb.255:                              ;   in Loop: Header=BB0_114 Depth=3
	v_and_b32_e32 v23, 0x7c0000, v54
	v_bfe_u32 v25, v54, 16, 2
	v_cmp_ne_u32_e32 vcc, s71, v23
                                        ; implicit-def: $vgpr23
	s_and_saveexec_b64 s[54:55], vcc
	s_xor_b64 s[54:55], exec, s[54:55]
	s_cbranch_execz .LBB0_257
; %bb.256:                              ;   in Loop: Header=BB0_114 Depth=3
	v_ffbh_u32_e32 v24, v25
	v_bfe_u32 v23, v54, 18, 5
	v_min_u32_e32 v24, 32, v24
	v_subrev_u32_e32 v27, 29, v24
	v_sub_u32_e32 v24, 30, v24
	v_cmp_eq_u32_e32 vcc, 0, v23
	v_lshlrev_b64 v[50:51], v27, v[2:3]
	v_cndmask_b32_e32 v23, v23, v24, vcc
	v_and_b32_e32 v27, 3, v50
	v_lshlrev_b32_e32 v2, 24, v2
	v_lshl_add_u32 v23, v23, 23, v47
	v_cndmask_b32_e32 v24, v25, v27, vcc
	v_and_or_b32 v2, v2, s67, v23
	v_lshl_or_b32 v23, v24, 21, v2
                                        ; implicit-def: $vgpr25
                                        ; implicit-def: $vgpr24
.LBB0_257:                              ;   in Loop: Header=BB0_114 Depth=3
	s_andn2_saveexec_b64 s[54:55], s[54:55]
; %bb.258:                              ;   in Loop: Header=BB0_114 Depth=3
	v_cmp_gt_i16_sdwa vcc, sext(v24), v6 src0_sel:BYTE_0 src1_sel:DWORD
	v_cndmask_b32_e32 v2, v7, v10, vcc
	v_cmp_eq_u32_e32 vcc, 0, v25
	v_cndmask_b32_e32 v23, v11, v2, vcc
; %bb.259:                              ;   in Loop: Header=BB0_114 Depth=3
	s_or_b64 exec, exec, s[54:55]
.LBB0_260:                              ;   in Loop: Header=BB0_114 Depth=3
	s_or_b64 exec, exec, s[52:53]
.LBB0_261:                              ;   in Loop: Header=BB0_114 Depth=3
	s_or_b64 exec, exec, s[20:21]
	v_max_f32_e32 v2, v23, v23
	v_max_f32_e32 v17, v17, v17
	v_min_f32_e32 v17, v17, v2
.LBB0_262:                              ;   in Loop: Header=BB0_114 Depth=3
	s_or_b64 exec, exec, s[50:51]
	v_and_b32_sdwa v2, v17, s68 dst_sel:DWORD dst_unused:UNUSED_PAD src0_sel:BYTE_3 src1_sel:DWORD
	v_and_b32_e32 v50, 0x7f800000, v17
	v_mov_b32_e32 v51, v55
	v_and_b32_e32 v24, 0x7fffff, v17
	v_mov_b32_e32 v25, v55
	v_or_b32_e32 v27, 0x7b, v2
	v_cmp_ne_u64_e32 vcc, s[40:41], v[50:51]
	s_and_saveexec_b64 s[20:21], vcc
	s_xor_b64 s[50:51], exec, s[20:21]
	s_cbranch_execz .LBB0_272
; %bb.263:                              ;   in Loop: Header=BB0_114 Depth=3
	v_and_b32_e32 v50, 0x7fffffff, v17
	v_mov_b32_e32 v51, v55
	v_cmp_gt_u64_e32 vcc, s[42:43], v[50:51]
	s_and_saveexec_b64 s[52:53], vcc
	s_cbranch_execz .LBB0_271
; %bb.264:                              ;   in Loop: Header=BB0_114 Depth=3
	v_cmp_ne_u32_e32 vcc, 0, v17
	v_mov_b32_e32 v27, 0
	s_and_saveexec_b64 s[54:55], vcc
	s_cbranch_execz .LBB0_270
; %bb.265:                              ;   in Loop: Header=BB0_114 Depth=3
	v_bfe_u32 v17, v17, 23, 8
	v_sub_u32_e32 v27, 0x71, v17
	v_cmp_gt_u32_e32 vcc, s69, v17
	v_add_u32_e32 v23, 0xffffff81, v17
	v_cndmask_b32_e32 v27, 0, v27, vcc
	v_cmp_eq_u32_e32 vcc, 0, v17
	v_cndmask_b32_e32 v17, v23, v30, vcc
	v_cndmask_b32_e32 v23, v27, v48, vcc
	v_add_u32_e32 v27, 21, v23
	v_or_b32_e32 v37, 0x800000, v24
	v_lshlrev_b64 v[50:51], v27, -1
	v_cndmask_b32_e32 v24, v37, v24, vcc
	v_not_b32_e32 v27, v51
	v_not_b32_e32 v37, v50
	v_and_b32_e32 v51, 0, v27
	v_and_b32_e32 v50, v24, v37
	v_add_u32_e32 v27, 20, v23
	v_lshrrev_b64 v[24:25], v23, v[24:25]
	v_lshlrev_b64 v[40:41], v27, 1
	v_lshrrev_b32_e32 v27, 23, v24
	v_add3_u32 v27, v23, v17, v27
	v_bfe_u32 v17, v24, 21, 1
	v_add_u32_e32 v17, -1, v17
	v_cmp_eq_u64_e32 vcc, v[50:51], v[40:41]
	v_cndmask_b32_e32 v17, 0, v17, vcc
	v_add_u32_e32 v17, v17, v24
	v_and_b32_e32 v17, 0x1fffff, v17
	v_add_co_u32_e32 v24, vcc, v17, v24
	v_add_u32_e32 v23, 14, v27
	v_addc_co_u32_e32 v25, vcc, 0, v25, vcc
	v_cmp_ne_u32_e32 vcc, 0, v23
                                        ; implicit-def: $vgpr17
	s_and_saveexec_b64 s[20:21], vcc
	s_xor_b64 s[20:21], exec, s[20:21]
; %bb.266:                              ;   in Loop: Header=BB0_114 Depth=3
	v_add_u32_e32 v17, 15, v27
	v_cmp_lt_u64_e32 vcc, s[44:45], v[24:25]
	v_cndmask_b32_e32 v17, v23, v17, vcc
	v_cndmask_b32_e64 v23, 0, 1, vcc
	v_lshrrev_b64 v[24:25], v23, v[24:25]
; %bb.267:                              ;   in Loop: Header=BB0_114 Depth=3
	s_andn2_saveexec_b64 s[20:21], s[20:21]
; %bb.268:                              ;   in Loop: Header=BB0_114 Depth=3
	v_bfe_u32 v17, v24, 23, 1
; %bb.269:                              ;   in Loop: Header=BB0_114 Depth=3
	s_or_b64 exec, exec, s[20:21]
	v_lshrrev_b64 v[24:25], 21, v[24:25]
	v_cmp_gt_i32_e32 vcc, 32, v17
	v_cndmask_b32_e32 v25, 0, v25, vcc
	v_cndmask_b32_e32 v24, 3, v24, vcc
	v_cmp_eq_u32_e32 vcc, 0, v17
	v_min_i32_e32 v17, 31, v17
	v_cmp_eq_u64_e64 s[20:21], 0, v[24:25]
	v_lshlrev_b32_e32 v17, 2, v17
	v_and_or_b32 v17, v24, 3, v17
	s_and_b64 s[20:21], vcc, s[20:21]
	v_cndmask_b32_e64 v17, v17, 0, s[20:21]
	v_or_b32_e32 v27, v17, v2
.LBB0_270:                              ;   in Loop: Header=BB0_114 Depth=3
	s_or_b64 exec, exec, s[54:55]
.LBB0_271:                              ;   in Loop: Header=BB0_114 Depth=3
	s_or_b64 exec, exec, s[52:53]
                                        ; implicit-def: $vgpr17
                                        ; implicit-def: $vgpr24_vgpr25
.LBB0_272:                              ;   in Loop: Header=BB0_114 Depth=3
	s_andn2_saveexec_b64 s[20:21], s[50:51]
; %bb.273:                              ;   in Loop: Header=BB0_114 Depth=3
	v_or_b32_sdwa v2, v17, s70 dst_sel:DWORD dst_unused:UNUSED_PAD src0_sel:BYTE_3 src1_sel:DWORD
	v_cmp_eq_u64_e32 vcc, 0, v[24:25]
	v_cndmask_b32_e32 v27, v2, v27, vcc
; %bb.274:                              ;   in Loop: Header=BB0_114 Depth=3
	s_or_b64 exec, exec, s[20:21]
	v_lshrrev_b32_e32 v24, 24, v16
	v_lshrrev_b32_e32 v2, 24, v54
	v_cmp_lt_u32_e32 vcc, s39, v16
                                        ; implicit-def: $vgpr17
	s_and_saveexec_b64 s[20:21], s[14:15]
	s_xor_b64 s[50:51], exec, s[20:21]
	s_cbranch_execz .LBB0_292
; %bb.275:                              ;   in Loop: Header=BB0_114 Depth=3
	v_mov_b32_e32 v23, 0
	v_mov_b32_e32 v17, 0
	s_and_saveexec_b64 s[52:53], vcc
	s_cbranch_execz .LBB0_283
; %bb.276:                              ;   in Loop: Header=BB0_114 Depth=3
	v_cmp_ne_u32_e64 s[20:21], s68, v24
	v_bfrev_b32_e32 v17, 1
	s_and_saveexec_b64 s[54:55], s[20:21]
	s_cbranch_execz .LBB0_282
; %bb.277:                              ;   in Loop: Header=BB0_114 Depth=3
	v_and_b32_e32 v17, 0x7c000000, v16
	v_bfe_u32 v25, v16, 24, 2
	v_cmp_ne_u32_e64 s[20:21], s72, v17
                                        ; implicit-def: $vgpr17
	s_and_saveexec_b64 s[56:57], s[20:21]
	s_xor_b64 s[56:57], exec, s[56:57]
	s_cbranch_execz .LBB0_279
; %bb.278:                              ;   in Loop: Header=BB0_114 Depth=3
	v_ffbh_u32_e32 v37, v25
	v_min_u32_e32 v37, 32, v37
	v_bfe_u32 v17, v16, 26, 5
	v_subrev_u32_e32 v50, 29, v37
	v_lshlrev_b64 v[50:51], v50, v[24:25]
	v_sub_u32_e32 v24, 30, v37
	v_cmp_eq_u32_e64 s[20:21], 0, v17
	v_cndmask_b32_e64 v17, v17, v24, s[20:21]
	v_and_b32_e32 v37, 3, v50
	v_lshl_add_u32 v17, v17, 23, v47
	v_cndmask_b32_e64 v24, v25, v37, s[20:21]
	v_and_or_b32 v16, v16, s67, v17
	v_lshl_or_b32 v17, v24, 21, v16
                                        ; implicit-def: $vgpr25
.LBB0_279:                              ;   in Loop: Header=BB0_114 Depth=3
	s_andn2_saveexec_b64 s[56:57], s[56:57]
; %bb.280:                              ;   in Loop: Header=BB0_114 Depth=3
	v_cmp_lt_i32_e64 s[20:21], -1, v16
	v_cndmask_b32_e64 v16, v7, v10, s[20:21]
	v_cmp_eq_u32_e64 s[20:21], 0, v25
	v_cndmask_b32_e64 v17, v11, v16, s[20:21]
; %bb.281:                              ;   in Loop: Header=BB0_114 Depth=3
	s_or_b64 exec, exec, s[56:57]
.LBB0_282:                              ;   in Loop: Header=BB0_114 Depth=3
	s_or_b64 exec, exec, s[54:55]
.LBB0_283:                              ;   in Loop: Header=BB0_114 Depth=3
	s_or_b64 exec, exec, s[52:53]
	v_cmp_lt_u32_e64 s[20:21], s39, v54
	s_and_saveexec_b64 s[52:53], s[20:21]
	s_cbranch_execz .LBB0_291
; %bb.284:                              ;   in Loop: Header=BB0_114 Depth=3
	v_cmp_ne_u32_e64 s[20:21], s68, v2
	v_bfrev_b32_e32 v23, 1
	s_and_saveexec_b64 s[54:55], s[20:21]
	s_cbranch_execz .LBB0_290
; %bb.285:                              ;   in Loop: Header=BB0_114 Depth=3
	v_and_b32_e32 v23, 0x7c000000, v54
	v_bfe_u32 v16, v54, 24, 2
	v_cmp_ne_u32_e64 s[20:21], s72, v23
                                        ; implicit-def: $vgpr23
	s_and_saveexec_b64 s[56:57], s[20:21]
	s_xor_b64 s[56:57], exec, s[56:57]
	s_cbranch_execz .LBB0_287
; %bb.286:                              ;   in Loop: Header=BB0_114 Depth=3
	v_ffbh_u32_e32 v24, v16
	v_min_u32_e32 v37, 32, v24
	v_bfe_u32 v23, v54, 26, 5
	v_subrev_u32_e32 v24, 29, v37
	v_lshlrev_b64 v[24:25], v24, v[2:3]
	v_sub_u32_e32 v2, 30, v37
	v_cmp_eq_u32_e64 s[20:21], 0, v23
	v_cndmask_b32_e64 v2, v23, v2, s[20:21]
	v_and_b32_e32 v24, 3, v24
	v_lshl_add_u32 v2, v2, 23, v47
	v_cndmask_b32_e64 v16, v16, v24, s[20:21]
	v_and_or_b32 v2, v54, s67, v2
	v_lshl_or_b32 v23, v16, 21, v2
                                        ; implicit-def: $vgpr16
.LBB0_287:                              ;   in Loop: Header=BB0_114 Depth=3
	s_andn2_saveexec_b64 s[56:57], s[56:57]
; %bb.288:                              ;   in Loop: Header=BB0_114 Depth=3
	v_cmp_lt_i32_e64 s[20:21], -1, v54
	v_cndmask_b32_e64 v2, v7, v10, s[20:21]
	v_cmp_eq_u32_e64 s[20:21], 0, v16
	v_cndmask_b32_e64 v23, v11, v2, s[20:21]
; %bb.289:                              ;   in Loop: Header=BB0_114 Depth=3
	s_or_b64 exec, exec, s[56:57]
.LBB0_290:                              ;   in Loop: Header=BB0_114 Depth=3
	s_or_b64 exec, exec, s[54:55]
.LBB0_291:                              ;   in Loop: Header=BB0_114 Depth=3
	s_or_b64 exec, exec, s[52:53]
	v_max_f32_e32 v2, v23, v23
	v_max_f32_e32 v16, v17, v17
	;; [unrolled: 1-line block ×3, first 2 shown]
                                        ; implicit-def: $vgpr2
                                        ; implicit-def: $vgpr24
.LBB0_292:                              ;   in Loop: Header=BB0_114 Depth=3
	s_andn2_saveexec_b64 s[20:21], s[50:51]
	s_cbranch_execz .LBB0_310
; %bb.293:                              ;   in Loop: Header=BB0_114 Depth=3
	v_mov_b32_e32 v23, 0
	v_mov_b32_e32 v17, 0
	s_and_saveexec_b64 s[50:51], vcc
	s_cbranch_execz .LBB0_301
; %bb.294:                              ;   in Loop: Header=BB0_114 Depth=3
	v_cmp_ne_u32_e32 vcc, s68, v24
	v_bfrev_b32_e32 v17, 1
	s_and_saveexec_b64 s[52:53], vcc
	s_cbranch_execz .LBB0_300
; %bb.295:                              ;   in Loop: Header=BB0_114 Depth=3
	v_and_b32_e32 v17, 0x7c000000, v16
	v_bfe_u32 v25, v16, 24, 2
	v_cmp_ne_u32_e32 vcc, s72, v17
                                        ; implicit-def: $vgpr17
	s_and_saveexec_b64 s[54:55], vcc
	s_xor_b64 s[54:55], exec, s[54:55]
	s_cbranch_execz .LBB0_297
; %bb.296:                              ;   in Loop: Header=BB0_114 Depth=3
	v_ffbh_u32_e32 v37, v25
	v_min_u32_e32 v37, 32, v37
	v_bfe_u32 v17, v16, 26, 5
	v_subrev_u32_e32 v50, 29, v37
	v_lshlrev_b64 v[50:51], v50, v[24:25]
	v_sub_u32_e32 v24, 30, v37
	v_cmp_eq_u32_e32 vcc, 0, v17
	v_cndmask_b32_e32 v17, v17, v24, vcc
	v_and_b32_e32 v37, 3, v50
	v_lshl_add_u32 v17, v17, 23, v47
	v_cndmask_b32_e32 v24, v25, v37, vcc
	v_and_or_b32 v16, v16, s67, v17
	v_lshl_or_b32 v17, v24, 21, v16
                                        ; implicit-def: $vgpr25
.LBB0_297:                              ;   in Loop: Header=BB0_114 Depth=3
	s_andn2_saveexec_b64 s[54:55], s[54:55]
; %bb.298:                              ;   in Loop: Header=BB0_114 Depth=3
	v_cmp_lt_i32_e32 vcc, -1, v16
	v_cndmask_b32_e32 v16, v7, v10, vcc
	v_cmp_eq_u32_e32 vcc, 0, v25
	v_cndmask_b32_e32 v17, v11, v16, vcc
; %bb.299:                              ;   in Loop: Header=BB0_114 Depth=3
	s_or_b64 exec, exec, s[54:55]
.LBB0_300:                              ;   in Loop: Header=BB0_114 Depth=3
	s_or_b64 exec, exec, s[52:53]
.LBB0_301:                              ;   in Loop: Header=BB0_114 Depth=3
	s_or_b64 exec, exec, s[50:51]
	v_cmp_lt_u32_e32 vcc, s39, v54
	s_and_saveexec_b64 s[50:51], vcc
	s_cbranch_execz .LBB0_309
; %bb.302:                              ;   in Loop: Header=BB0_114 Depth=3
	v_cmp_ne_u32_e32 vcc, s68, v2
	v_bfrev_b32_e32 v23, 1
	s_and_saveexec_b64 s[52:53], vcc
	s_cbranch_execz .LBB0_308
; %bb.303:                              ;   in Loop: Header=BB0_114 Depth=3
	v_and_b32_e32 v23, 0x7c000000, v54
	v_bfe_u32 v16, v54, 24, 2
	v_cmp_ne_u32_e32 vcc, s72, v23
                                        ; implicit-def: $vgpr23
	s_and_saveexec_b64 s[54:55], vcc
	s_xor_b64 s[54:55], exec, s[54:55]
	s_cbranch_execz .LBB0_305
; %bb.304:                              ;   in Loop: Header=BB0_114 Depth=3
	v_ffbh_u32_e32 v24, v16
	v_min_u32_e32 v37, 32, v24
	v_bfe_u32 v23, v54, 26, 5
	v_subrev_u32_e32 v24, 29, v37
	v_lshlrev_b64 v[24:25], v24, v[2:3]
	v_sub_u32_e32 v2, 30, v37
	v_cmp_eq_u32_e32 vcc, 0, v23
	v_cndmask_b32_e32 v2, v23, v2, vcc
	v_and_b32_e32 v24, 3, v24
	v_lshl_add_u32 v2, v2, 23, v47
	v_cndmask_b32_e32 v16, v16, v24, vcc
	v_and_or_b32 v2, v54, s67, v2
	v_lshl_or_b32 v23, v16, 21, v2
                                        ; implicit-def: $vgpr16
.LBB0_305:                              ;   in Loop: Header=BB0_114 Depth=3
	s_andn2_saveexec_b64 s[54:55], s[54:55]
; %bb.306:                              ;   in Loop: Header=BB0_114 Depth=3
	v_cmp_lt_i32_e32 vcc, -1, v54
	v_cndmask_b32_e32 v2, v7, v10, vcc
	v_cmp_eq_u32_e32 vcc, 0, v16
	v_cndmask_b32_e32 v23, v11, v2, vcc
; %bb.307:                              ;   in Loop: Header=BB0_114 Depth=3
	s_or_b64 exec, exec, s[54:55]
.LBB0_308:                              ;   in Loop: Header=BB0_114 Depth=3
	s_or_b64 exec, exec, s[52:53]
.LBB0_309:                              ;   in Loop: Header=BB0_114 Depth=3
	s_or_b64 exec, exec, s[50:51]
	v_max_f32_e32 v2, v23, v23
	v_max_f32_e32 v16, v17, v17
	v_min_f32_e32 v17, v16, v2
.LBB0_310:                              ;   in Loop: Header=BB0_114 Depth=3
	s_or_b64 exec, exec, s[20:21]
	v_and_b32_sdwa v2, v17, s68 dst_sel:DWORD dst_unused:UNUSED_PAD src0_sel:BYTE_3 src1_sel:DWORD
	v_and_b32_e32 v24, 0x7f800000, v17
	v_mov_b32_e32 v25, v55
	v_and_b32_e32 v54, 0x7fffff, v17
	v_or_b32_e32 v23, 0x7b, v2
	v_cmp_ne_u64_e32 vcc, s[40:41], v[24:25]
	s_and_saveexec_b64 s[20:21], vcc
	s_xor_b64 s[50:51], exec, s[20:21]
	s_cbranch_execz .LBB0_320
; %bb.311:                              ;   in Loop: Header=BB0_114 Depth=3
	v_and_b32_e32 v24, 0x7fffffff, v17
	v_mov_b32_e32 v25, v55
	v_cmp_gt_u64_e32 vcc, s[42:43], v[24:25]
	s_and_saveexec_b64 s[52:53], vcc
	s_cbranch_execz .LBB0_319
; %bb.312:                              ;   in Loop: Header=BB0_114 Depth=3
	v_cmp_ne_u32_e32 vcc, 0, v17
	v_mov_b32_e32 v23, 0
	s_and_saveexec_b64 s[54:55], vcc
	s_cbranch_execz .LBB0_318
; %bb.313:                              ;   in Loop: Header=BB0_114 Depth=3
	v_bfe_u32 v16, v17, 23, 8
	v_sub_u32_e32 v23, 0x71, v16
	v_cmp_gt_u32_e32 vcc, s69, v16
	v_cndmask_b32_e32 v23, 0, v23, vcc
	v_cmp_eq_u32_e32 vcc, 0, v16
	v_or_b32_e32 v24, 0x800000, v54
	v_cndmask_b32_e32 v23, v23, v48, vcc
	v_add_u32_e32 v17, 0xffffff81, v16
	v_cndmask_b32_e32 v54, v24, v54, vcc
	v_add_u32_e32 v16, 21, v23
	v_cndmask_b32_e32 v25, v17, v30, vcc
	v_lshlrev_b64 v[16:17], v16, -1
	v_add_u32_e32 v24, 20, v23
	v_lshrrev_b64 v[40:41], v23, v[54:55]
	v_not_b32_e32 v17, v17
	v_not_b32_e32 v16, v16
	v_lshlrev_b64 v[50:51], v24, 1
	v_lshrrev_b32_e32 v24, 23, v40
	v_and_b32_e32 v17, 0, v17
	v_and_b32_e32 v16, v54, v16
	v_add3_u32 v25, v23, v25, v24
	v_bfe_u32 v23, v40, 21, 1
	v_add_u32_e32 v23, -1, v23
	v_cmp_eq_u64_e32 vcc, v[16:17], v[50:51]
	v_cndmask_b32_e32 v16, 0, v23, vcc
	v_add_u32_e32 v16, v16, v40
	v_and_b32_e32 v16, 0x1fffff, v16
	v_add_co_u32_e32 v16, vcc, v16, v40
	v_add_u32_e32 v24, 14, v25
	v_addc_co_u32_e32 v17, vcc, 0, v41, vcc
	v_cmp_ne_u32_e32 vcc, 0, v24
                                        ; implicit-def: $vgpr23
	s_and_saveexec_b64 s[20:21], vcc
	s_xor_b64 s[20:21], exec, s[20:21]
; %bb.314:                              ;   in Loop: Header=BB0_114 Depth=3
	v_add_u32_e32 v23, 15, v25
	v_cmp_lt_u64_e32 vcc, s[44:45], v[16:17]
	v_cndmask_b32_e32 v23, v24, v23, vcc
	v_cndmask_b32_e64 v24, 0, 1, vcc
	v_lshrrev_b64 v[16:17], v24, v[16:17]
; %bb.315:                              ;   in Loop: Header=BB0_114 Depth=3
	s_andn2_saveexec_b64 s[20:21], s[20:21]
; %bb.316:                              ;   in Loop: Header=BB0_114 Depth=3
	v_bfe_u32 v23, v16, 23, 1
; %bb.317:                              ;   in Loop: Header=BB0_114 Depth=3
	s_or_b64 exec, exec, s[20:21]
	v_lshrrev_b64 v[16:17], 21, v[16:17]
	v_cmp_gt_i32_e32 vcc, 32, v23
	v_cndmask_b32_e32 v17, 0, v17, vcc
	v_cndmask_b32_e32 v16, 3, v16, vcc
	v_cmp_eq_u64_e64 s[20:21], 0, v[16:17]
	v_min_i32_e32 v17, 31, v23
	v_cmp_eq_u32_e32 vcc, 0, v23
	v_lshlrev_b32_e32 v17, 2, v17
	v_and_or_b32 v16, v16, 3, v17
	s_and_b64 s[20:21], vcc, s[20:21]
	v_cndmask_b32_e64 v16, v16, 0, s[20:21]
	v_or_b32_e32 v23, v16, v2
.LBB0_318:                              ;   in Loop: Header=BB0_114 Depth=3
	s_or_b64 exec, exec, s[54:55]
.LBB0_319:                              ;   in Loop: Header=BB0_114 Depth=3
	s_or_b64 exec, exec, s[52:53]
                                        ; implicit-def: $vgpr17
.LBB0_320:                              ;   in Loop: Header=BB0_114 Depth=3
	s_andn2_saveexec_b64 s[20:21], s[50:51]
; %bb.321:                              ;   in Loop: Header=BB0_114 Depth=3
	v_or_b32_sdwa v2, v17, s70 dst_sel:DWORD dst_unused:UNUSED_PAD src0_sel:BYTE_3 src1_sel:DWORD
	v_cmp_eq_u64_e32 vcc, 0, v[54:55]
	v_cndmask_b32_e32 v23, v2, v23, vcc
; %bb.322:                              ;   in Loop: Header=BB0_114 Depth=3
	s_or_b64 exec, exec, s[20:21]
	v_alignbit_b32 v54, v46, v22, v36
	v_cmp_ne_u16_sdwa s[20:21], v18, v55 src0_sel:BYTE_0 src1_sel:DWORD
                                        ; implicit-def: $vgpr24
	s_and_saveexec_b64 vcc, s[14:15]
	s_xor_b64 s[50:51], exec, vcc
	s_cbranch_execz .LBB0_340
; %bb.323:                              ;   in Loop: Header=BB0_114 Depth=3
	v_mov_b32_e32 v16, 0
	v_mov_b32_e32 v2, 0
	s_and_saveexec_b64 s[52:53], s[20:21]
	s_cbranch_execz .LBB0_331
; %bb.324:                              ;   in Loop: Header=BB0_114 Depth=3
	v_cmp_ne_u16_sdwa vcc, sext(v18), s65 src0_sel:BYTE_0 src1_sel:DWORD
	v_bfrev_b32_e32 v2, 1
	s_and_saveexec_b64 s[54:55], vcc
	s_cbranch_execz .LBB0_330
; %bb.325:                              ;   in Loop: Header=BB0_114 Depth=3
	v_and_b32_e32 v2, 0x7c, v18
	v_and_b32_e32 v17, 3, v18
	v_cmp_ne_u32_e32 vcc, s66, v2
                                        ; implicit-def: $vgpr2
	s_and_saveexec_b64 s[56:57], vcc
	s_xor_b64 s[56:57], exec, s[56:57]
	s_cbranch_execz .LBB0_327
; %bb.326:                              ;   in Loop: Header=BB0_114 Depth=3
	v_ffbh_u32_e32 v22, v17
	v_bfe_u32 v2, v18, 2, 5
	v_min_u32_e32 v22, 32, v22
	v_subrev_u32_e32 v24, 29, v22
	v_sub_u32_e32 v22, 30, v22
	v_cmp_eq_u32_e32 vcc, 0, v2
	v_lshlrev_b64 v[24:25], v24, v[18:19]
	v_cndmask_b32_e32 v2, v2, v22, vcc
	v_and_b32_e32 v24, 3, v24
	v_lshlrev_b32_e32 v22, 24, v18
	v_lshl_add_u32 v2, v2, 23, v47
	v_cndmask_b32_e32 v17, v17, v24, vcc
	v_and_or_b32 v2, v22, s67, v2
	v_lshl_or_b32 v2, v17, 21, v2
                                        ; implicit-def: $vgpr17
.LBB0_327:                              ;   in Loop: Header=BB0_114 Depth=3
	s_andn2_saveexec_b64 s[56:57], s[56:57]
; %bb.328:                              ;   in Loop: Header=BB0_114 Depth=3
	v_cmp_gt_i16_sdwa vcc, sext(v18), v6 src0_sel:BYTE_0 src1_sel:DWORD
	v_cndmask_b32_e32 v2, v7, v10, vcc
	v_cmp_eq_u32_e32 vcc, 0, v17
	v_cndmask_b32_e32 v2, v11, v2, vcc
; %bb.329:                              ;   in Loop: Header=BB0_114 Depth=3
	s_or_b64 exec, exec, s[56:57]
.LBB0_330:                              ;   in Loop: Header=BB0_114 Depth=3
	s_or_b64 exec, exec, s[54:55]
.LBB0_331:                              ;   in Loop: Header=BB0_114 Depth=3
	s_or_b64 exec, exec, s[52:53]
	v_cmp_ne_u16_sdwa vcc, sext(v54), v55 src0_sel:BYTE_0 src1_sel:DWORD
	s_and_saveexec_b64 s[52:53], vcc
	s_cbranch_execz .LBB0_339
; %bb.332:                              ;   in Loop: Header=BB0_114 Depth=3
	v_cmp_ne_u16_sdwa vcc, sext(v54), s65 src0_sel:BYTE_0 src1_sel:DWORD
	v_bfrev_b32_e32 v16, 1
	s_and_saveexec_b64 s[54:55], vcc
	s_cbranch_execz .LBB0_338
; %bb.333:                              ;   in Loop: Header=BB0_114 Depth=3
	v_and_b32_e32 v16, 0x7c, v54
	v_and_b32_e32 v17, 3, v54
	v_cmp_ne_u32_e32 vcc, s66, v16
                                        ; implicit-def: $vgpr16
	s_and_saveexec_b64 s[56:57], vcc
	s_xor_b64 s[56:57], exec, s[56:57]
	s_cbranch_execz .LBB0_335
; %bb.334:                              ;   in Loop: Header=BB0_114 Depth=3
	v_ffbh_u32_e32 v22, v17
	v_bfe_u32 v16, v54, 2, 5
	v_min_u32_e32 v22, 32, v22
	v_subrev_u32_e32 v24, 29, v22
	v_sub_u32_e32 v22, 30, v22
	v_cmp_eq_u32_e32 vcc, 0, v16
	v_lshlrev_b64 v[24:25], v24, v[54:55]
	v_cndmask_b32_e32 v16, v16, v22, vcc
	v_and_b32_e32 v24, 3, v24
	v_lshlrev_b32_e32 v22, 24, v54
	v_lshl_add_u32 v16, v16, 23, v47
	v_cndmask_b32_e32 v17, v17, v24, vcc
	v_and_or_b32 v16, v22, s67, v16
	v_lshl_or_b32 v16, v17, 21, v16
                                        ; implicit-def: $vgpr17
.LBB0_335:                              ;   in Loop: Header=BB0_114 Depth=3
	s_andn2_saveexec_b64 s[56:57], s[56:57]
; %bb.336:                              ;   in Loop: Header=BB0_114 Depth=3
	v_cmp_gt_i16_sdwa vcc, sext(v54), v6 src0_sel:BYTE_0 src1_sel:DWORD
	v_cndmask_b32_e32 v16, v7, v10, vcc
	v_cmp_eq_u32_e32 vcc, 0, v17
	v_cndmask_b32_e32 v16, v11, v16, vcc
; %bb.337:                              ;   in Loop: Header=BB0_114 Depth=3
	s_or_b64 exec, exec, s[56:57]
.LBB0_338:                              ;   in Loop: Header=BB0_114 Depth=3
	s_or_b64 exec, exec, s[54:55]
.LBB0_339:                              ;   in Loop: Header=BB0_114 Depth=3
	s_or_b64 exec, exec, s[52:53]
	v_max_f32_e32 v16, v16, v16
	v_max_f32_e32 v2, v2, v2
	;; [unrolled: 1-line block ×3, first 2 shown]
.LBB0_340:                              ;   in Loop: Header=BB0_114 Depth=3
	s_andn2_saveexec_b64 s[50:51], s[50:51]
	s_cbranch_execz .LBB0_358
; %bb.341:                              ;   in Loop: Header=BB0_114 Depth=3
	v_mov_b32_e32 v16, 0
	v_mov_b32_e32 v2, 0
	s_and_saveexec_b64 s[52:53], s[20:21]
	s_cbranch_execz .LBB0_349
; %bb.342:                              ;   in Loop: Header=BB0_114 Depth=3
	v_cmp_ne_u16_sdwa vcc, sext(v18), s65 src0_sel:BYTE_0 src1_sel:DWORD
	v_bfrev_b32_e32 v2, 1
	s_and_saveexec_b64 s[20:21], vcc
	s_cbranch_execz .LBB0_348
; %bb.343:                              ;   in Loop: Header=BB0_114 Depth=3
	v_and_b32_e32 v2, 0x7c, v18
	v_and_b32_e32 v17, 3, v18
	v_cmp_ne_u32_e32 vcc, s66, v2
                                        ; implicit-def: $vgpr2
	s_and_saveexec_b64 s[54:55], vcc
	s_xor_b64 s[54:55], exec, s[54:55]
	s_cbranch_execz .LBB0_345
; %bb.344:                              ;   in Loop: Header=BB0_114 Depth=3
	v_ffbh_u32_e32 v22, v17
	v_min_u32_e32 v22, 32, v22
	v_bfe_u32 v2, v18, 2, 5
	v_subrev_u32_e32 v24, 29, v22
	v_lshlrev_b64 v[24:25], v24, v[18:19]
	v_sub_u32_e32 v19, 30, v22
	v_cmp_eq_u32_e32 vcc, 0, v2
	v_cndmask_b32_e32 v2, v2, v19, vcc
	v_and_b32_e32 v22, 3, v24
	v_lshlrev_b32_e32 v19, 24, v18
	v_lshl_add_u32 v2, v2, 23, v47
	v_cndmask_b32_e32 v17, v17, v22, vcc
	v_and_or_b32 v2, v19, s67, v2
	v_lshl_or_b32 v2, v17, 21, v2
                                        ; implicit-def: $vgpr17
.LBB0_345:                              ;   in Loop: Header=BB0_114 Depth=3
	s_andn2_saveexec_b64 s[54:55], s[54:55]
; %bb.346:                              ;   in Loop: Header=BB0_114 Depth=3
	v_cmp_gt_i16_sdwa vcc, sext(v18), v6 src0_sel:BYTE_0 src1_sel:DWORD
	v_cndmask_b32_e32 v2, v7, v10, vcc
	v_cmp_eq_u32_e32 vcc, 0, v17
	v_cndmask_b32_e32 v2, v11, v2, vcc
; %bb.347:                              ;   in Loop: Header=BB0_114 Depth=3
	s_or_b64 exec, exec, s[54:55]
.LBB0_348:                              ;   in Loop: Header=BB0_114 Depth=3
	s_or_b64 exec, exec, s[20:21]
.LBB0_349:                              ;   in Loop: Header=BB0_114 Depth=3
	s_or_b64 exec, exec, s[52:53]
	v_cmp_ne_u16_sdwa vcc, sext(v54), v55 src0_sel:BYTE_0 src1_sel:DWORD
	s_and_saveexec_b64 s[20:21], vcc
	s_cbranch_execz .LBB0_357
; %bb.350:                              ;   in Loop: Header=BB0_114 Depth=3
	v_cmp_ne_u16_sdwa vcc, sext(v54), s65 src0_sel:BYTE_0 src1_sel:DWORD
	v_bfrev_b32_e32 v16, 1
	s_and_saveexec_b64 s[52:53], vcc
	s_cbranch_execz .LBB0_356
; %bb.351:                              ;   in Loop: Header=BB0_114 Depth=3
	v_and_b32_e32 v16, 0x7c, v54
	v_and_b32_e32 v17, 3, v54
	v_cmp_ne_u32_e32 vcc, s66, v16
                                        ; implicit-def: $vgpr16
	s_and_saveexec_b64 s[54:55], vcc
	s_xor_b64 s[54:55], exec, s[54:55]
	s_cbranch_execz .LBB0_353
; %bb.352:                              ;   in Loop: Header=BB0_114 Depth=3
	v_ffbh_u32_e32 v19, v17
	v_bfe_u32 v16, v54, 2, 5
	v_min_u32_e32 v19, 32, v19
	v_subrev_u32_e32 v22, 29, v19
	v_sub_u32_e32 v19, 30, v19
	v_cmp_eq_u32_e32 vcc, 0, v16
	v_lshlrev_b64 v[24:25], v22, v[54:55]
	v_cndmask_b32_e32 v16, v16, v19, vcc
	v_and_b32_e32 v22, 3, v24
	v_lshlrev_b32_e32 v19, 24, v54
	v_lshl_add_u32 v16, v16, 23, v47
	v_cndmask_b32_e32 v17, v17, v22, vcc
	v_and_or_b32 v16, v19, s67, v16
	v_lshl_or_b32 v16, v17, 21, v16
                                        ; implicit-def: $vgpr17
.LBB0_353:                              ;   in Loop: Header=BB0_114 Depth=3
	s_andn2_saveexec_b64 s[54:55], s[54:55]
; %bb.354:                              ;   in Loop: Header=BB0_114 Depth=3
	v_cmp_gt_i16_sdwa vcc, sext(v54), v6 src0_sel:BYTE_0 src1_sel:DWORD
	v_cndmask_b32_e32 v16, v7, v10, vcc
	v_cmp_eq_u32_e32 vcc, 0, v17
	v_cndmask_b32_e32 v16, v11, v16, vcc
; %bb.355:                              ;   in Loop: Header=BB0_114 Depth=3
	s_or_b64 exec, exec, s[54:55]
.LBB0_356:                              ;   in Loop: Header=BB0_114 Depth=3
	s_or_b64 exec, exec, s[52:53]
.LBB0_357:                              ;   in Loop: Header=BB0_114 Depth=3
	s_or_b64 exec, exec, s[20:21]
	v_max_f32_e32 v16, v16, v16
	v_max_f32_e32 v2, v2, v2
	v_min_f32_e32 v24, v2, v16
.LBB0_358:                              ;   in Loop: Header=BB0_114 Depth=3
	s_or_b64 exec, exec, s[50:51]
	v_and_b32_sdwa v2, v24, s68 dst_sel:DWORD dst_unused:UNUSED_PAD src0_sel:BYTE_3 src1_sel:DWORD
	v_and_b32_e32 v36, 0x7f800000, v24
	v_mov_b32_e32 v37, v55
	v_and_b32_e32 v16, 0x7fffff, v24
	v_mov_b32_e32 v17, v55
	v_or_b32_e32 v22, 0x7b, v2
	v_cmp_ne_u64_e32 vcc, s[40:41], v[36:37]
	s_and_saveexec_b64 s[20:21], vcc
	s_xor_b64 s[50:51], exec, s[20:21]
	s_cbranch_execz .LBB0_368
; %bb.359:                              ;   in Loop: Header=BB0_114 Depth=3
	v_and_b32_e32 v36, 0x7fffffff, v24
	v_mov_b32_e32 v37, v55
	v_cmp_gt_u64_e32 vcc, s[42:43], v[36:37]
	s_and_saveexec_b64 s[52:53], vcc
	s_cbranch_execz .LBB0_367
; %bb.360:                              ;   in Loop: Header=BB0_114 Depth=3
	v_cmp_ne_u32_e32 vcc, 0, v24
	v_mov_b32_e32 v22, 0
	s_and_saveexec_b64 s[54:55], vcc
	s_cbranch_execz .LBB0_366
; %bb.361:                              ;   in Loop: Header=BB0_114 Depth=3
	v_bfe_u32 v19, v24, 23, 8
	v_sub_u32_e32 v24, 0x71, v19
	v_cmp_gt_u32_e32 vcc, s69, v19
	v_add_u32_e32 v22, 0xffffff81, v19
	v_cndmask_b32_e32 v24, 0, v24, vcc
	v_cmp_eq_u32_e32 vcc, 0, v19
	v_cndmask_b32_e32 v19, v22, v30, vcc
	v_cndmask_b32_e32 v22, v24, v48, vcc
	v_or_b32_e32 v25, 0x800000, v16
	v_add_u32_e32 v24, 21, v22
	v_cndmask_b32_e32 v16, v25, v16, vcc
	v_lshlrev_b64 v[24:25], v24, -1
	v_not_b32_e32 v24, v24
	v_and_b32_e32 v36, v16, v24
	v_add_u32_e32 v24, 20, v22
	v_lshrrev_b64 v[16:17], v22, v[16:17]
	v_not_b32_e32 v25, v25
	v_lshlrev_b64 v[50:51], v24, 1
	v_lshrrev_b32_e32 v24, 23, v16
	v_and_b32_e32 v37, 0, v25
	v_add3_u32 v24, v22, v19, v24
	v_bfe_u32 v19, v16, 21, 1
	v_add_u32_e32 v19, -1, v19
	v_cmp_eq_u64_e32 vcc, v[36:37], v[50:51]
	v_cndmask_b32_e32 v19, 0, v19, vcc
	v_add_u32_e32 v19, v19, v16
	v_and_b32_e32 v19, 0x1fffff, v19
	v_add_co_u32_e32 v16, vcc, v19, v16
	v_add_u32_e32 v22, 14, v24
	v_addc_co_u32_e32 v17, vcc, 0, v17, vcc
	v_cmp_ne_u32_e32 vcc, 0, v22
                                        ; implicit-def: $vgpr19
	s_and_saveexec_b64 s[20:21], vcc
	s_xor_b64 s[20:21], exec, s[20:21]
; %bb.362:                              ;   in Loop: Header=BB0_114 Depth=3
	v_add_u32_e32 v19, 15, v24
	v_cmp_lt_u64_e32 vcc, s[44:45], v[16:17]
	v_cndmask_b32_e32 v19, v22, v19, vcc
	v_cndmask_b32_e64 v22, 0, 1, vcc
	v_lshrrev_b64 v[16:17], v22, v[16:17]
; %bb.363:                              ;   in Loop: Header=BB0_114 Depth=3
	s_andn2_saveexec_b64 s[20:21], s[20:21]
; %bb.364:                              ;   in Loop: Header=BB0_114 Depth=3
	v_bfe_u32 v19, v16, 23, 1
; %bb.365:                              ;   in Loop: Header=BB0_114 Depth=3
	s_or_b64 exec, exec, s[20:21]
	v_lshrrev_b64 v[16:17], 21, v[16:17]
	v_cmp_gt_i32_e32 vcc, 32, v19
	v_cndmask_b32_e32 v17, 0, v17, vcc
	v_cndmask_b32_e32 v16, 3, v16, vcc
	v_cmp_eq_u64_e64 s[20:21], 0, v[16:17]
	v_min_i32_e32 v17, 31, v19
	v_cmp_eq_u32_e32 vcc, 0, v19
	v_lshlrev_b32_e32 v17, 2, v17
	v_and_or_b32 v16, v16, 3, v17
	s_and_b64 s[20:21], vcc, s[20:21]
	v_cndmask_b32_e64 v16, v16, 0, s[20:21]
	v_or_b32_e32 v22, v16, v2
.LBB0_366:                              ;   in Loop: Header=BB0_114 Depth=3
	s_or_b64 exec, exec, s[54:55]
.LBB0_367:                              ;   in Loop: Header=BB0_114 Depth=3
	s_or_b64 exec, exec, s[52:53]
                                        ; implicit-def: $vgpr24
                                        ; implicit-def: $vgpr16_vgpr17
.LBB0_368:                              ;   in Loop: Header=BB0_114 Depth=3
	s_andn2_saveexec_b64 s[20:21], s[50:51]
; %bb.369:                              ;   in Loop: Header=BB0_114 Depth=3
	v_or_b32_sdwa v2, v24, s70 dst_sel:DWORD dst_unused:UNUSED_PAD src0_sel:BYTE_3 src1_sel:DWORD
	v_cmp_eq_u64_e32 vcc, 0, v[16:17]
	v_cndmask_b32_e32 v22, v2, v22, vcc
; %bb.370:                              ;   in Loop: Header=BB0_114 Depth=3
	s_or_b64 exec, exec, s[20:21]
	v_lshrrev_b16_e32 v24, 8, v18
	v_lshrrev_b16_e32 v16, 8, v54
	v_cmp_ne_u16_e32 vcc, 0, v24
                                        ; implicit-def: $vgpr19
	s_and_saveexec_b64 s[20:21], s[14:15]
	s_xor_b64 s[50:51], exec, s[20:21]
	s_cbranch_execz .LBB0_388
; %bb.371:                              ;   in Loop: Header=BB0_114 Depth=3
	v_mov_b32_e32 v17, 0
	v_mov_b32_e32 v2, 0
	s_and_saveexec_b64 s[52:53], vcc
	s_cbranch_execz .LBB0_379
; %bb.372:                              ;   in Loop: Header=BB0_114 Depth=3
	v_cmp_ne_u16_e64 s[20:21], s68, v24
	v_bfrev_b32_e32 v2, 1
	s_and_saveexec_b64 s[54:55], s[20:21]
	s_cbranch_execz .LBB0_378
; %bb.373:                              ;   in Loop: Header=BB0_114 Depth=3
	v_and_b32_e32 v2, 0x7c, v24
	v_and_b32_e32 v19, 3, v24
	v_cmp_ne_u32_e64 s[20:21], s66, v2
                                        ; implicit-def: $vgpr2
	s_and_saveexec_b64 s[56:57], s[20:21]
	s_xor_b64 s[56:57], exec, s[56:57]
	s_cbranch_execz .LBB0_375
; %bb.374:                              ;   in Loop: Header=BB0_114 Depth=3
	v_ffbh_u32_e32 v36, v19
	v_min_u32_e32 v36, 32, v36
	v_mov_b32_e32 v25, v55
	v_subrev_u32_e32 v37, 29, v36
	v_bfe_u32 v2, v24, 2, 5
	v_lshlrev_b64 v[24:25], v37, v[24:25]
	v_sub_u32_e32 v25, 30, v36
	v_cmp_eq_u32_e64 s[20:21], 0, v2
	v_and_b32_e32 v24, 3, v24
	v_cndmask_b32_e64 v2, v2, v25, s[20:21]
	v_cndmask_b32_e64 v19, v19, v24, s[20:21]
	v_lshlrev_b32_e32 v24, 16, v18
	v_lshl_add_u32 v2, v2, 23, v47
	v_and_or_b32 v2, v24, s67, v2
	v_lshl_or_b32 v2, v19, 21, v2
                                        ; implicit-def: $vgpr19
.LBB0_375:                              ;   in Loop: Header=BB0_114 Depth=3
	s_andn2_saveexec_b64 s[56:57], s[56:57]
; %bb.376:                              ;   in Loop: Header=BB0_114 Depth=3
	v_cmp_lt_i16_e64 s[20:21], -1, v18
	v_cndmask_b32_e64 v2, v7, v10, s[20:21]
	v_cmp_eq_u32_e64 s[20:21], 0, v19
	v_cndmask_b32_e64 v2, v11, v2, s[20:21]
; %bb.377:                              ;   in Loop: Header=BB0_114 Depth=3
	s_or_b64 exec, exec, s[56:57]
.LBB0_378:                              ;   in Loop: Header=BB0_114 Depth=3
	s_or_b64 exec, exec, s[54:55]
.LBB0_379:                              ;   in Loop: Header=BB0_114 Depth=3
	s_or_b64 exec, exec, s[52:53]
	v_cmp_ne_u16_e64 s[20:21], 0, v16
	s_and_saveexec_b64 s[52:53], s[20:21]
	s_cbranch_execz .LBB0_387
; %bb.380:                              ;   in Loop: Header=BB0_114 Depth=3
	v_cmp_ne_u16_e64 s[20:21], s68, v16
	v_bfrev_b32_e32 v17, 1
	s_and_saveexec_b64 s[54:55], s[20:21]
	s_cbranch_execz .LBB0_386
; %bb.381:                              ;   in Loop: Header=BB0_114 Depth=3
	v_and_b32_e32 v17, 0x7c, v16
	v_and_b32_e32 v19, 3, v16
	v_cmp_ne_u32_e64 s[20:21], s66, v17
                                        ; implicit-def: $vgpr17
	s_and_saveexec_b64 s[56:57], s[20:21]
	s_xor_b64 s[56:57], exec, s[56:57]
	s_cbranch_execz .LBB0_383
; %bb.382:                              ;   in Loop: Header=BB0_114 Depth=3
	v_ffbh_u32_e32 v25, v19
	v_min_u32_e32 v25, 32, v25
	v_mov_b32_e32 v17, v55
	v_subrev_u32_e32 v36, 29, v25
	v_bfe_u32 v24, v16, 2, 5
	v_lshlrev_b64 v[16:17], v36, v[16:17]
	v_sub_u32_e32 v17, 30, v25
	v_cmp_eq_u32_e64 s[20:21], 0, v24
	v_and_b32_e32 v16, 3, v16
	v_cndmask_b32_e64 v17, v24, v17, s[20:21]
	v_cndmask_b32_e64 v16, v19, v16, s[20:21]
	v_lshlrev_b32_e32 v19, 16, v54
	v_lshl_add_u32 v17, v17, 23, v47
	v_and_or_b32 v17, v19, s67, v17
	v_lshl_or_b32 v17, v16, 21, v17
                                        ; implicit-def: $vgpr19
.LBB0_383:                              ;   in Loop: Header=BB0_114 Depth=3
	s_andn2_saveexec_b64 s[56:57], s[56:57]
; %bb.384:                              ;   in Loop: Header=BB0_114 Depth=3
	v_cmp_lt_i16_e64 s[20:21], -1, v54
	v_cndmask_b32_e64 v16, v7, v10, s[20:21]
	v_cmp_eq_u32_e64 s[20:21], 0, v19
	v_cndmask_b32_e64 v17, v11, v16, s[20:21]
; %bb.385:                              ;   in Loop: Header=BB0_114 Depth=3
	s_or_b64 exec, exec, s[56:57]
.LBB0_386:                              ;   in Loop: Header=BB0_114 Depth=3
	s_or_b64 exec, exec, s[54:55]
.LBB0_387:                              ;   in Loop: Header=BB0_114 Depth=3
	s_or_b64 exec, exec, s[52:53]
	v_max_f32_e32 v16, v17, v17
	v_max_f32_e32 v2, v2, v2
	;; [unrolled: 1-line block ×3, first 2 shown]
                                        ; implicit-def: $vgpr16
                                        ; implicit-def: $vgpr24
.LBB0_388:                              ;   in Loop: Header=BB0_114 Depth=3
	s_andn2_saveexec_b64 s[20:21], s[50:51]
	s_cbranch_execz .LBB0_406
; %bb.389:                              ;   in Loop: Header=BB0_114 Depth=3
	v_mov_b32_e32 v17, 0
	v_mov_b32_e32 v2, 0
	s_and_saveexec_b64 s[50:51], vcc
	s_cbranch_execz .LBB0_397
; %bb.390:                              ;   in Loop: Header=BB0_114 Depth=3
	v_cmp_ne_u16_e32 vcc, s68, v24
	v_bfrev_b32_e32 v2, 1
	s_and_saveexec_b64 s[52:53], vcc
	s_cbranch_execz .LBB0_396
; %bb.391:                              ;   in Loop: Header=BB0_114 Depth=3
	v_and_b32_e32 v2, 0x7c, v24
	v_and_b32_e32 v19, 3, v24
	v_cmp_ne_u32_e32 vcc, s66, v2
                                        ; implicit-def: $vgpr2
	s_and_saveexec_b64 s[54:55], vcc
	s_xor_b64 s[54:55], exec, s[54:55]
	s_cbranch_execz .LBB0_393
; %bb.392:                              ;   in Loop: Header=BB0_114 Depth=3
	v_ffbh_u32_e32 v36, v19
	v_min_u32_e32 v36, 32, v36
	v_mov_b32_e32 v25, v55
	v_subrev_u32_e32 v37, 29, v36
	v_bfe_u32 v2, v24, 2, 5
	v_lshlrev_b64 v[24:25], v37, v[24:25]
	v_sub_u32_e32 v25, 30, v36
	v_cmp_eq_u32_e32 vcc, 0, v2
	v_and_b32_e32 v24, 3, v24
	v_cndmask_b32_e32 v2, v2, v25, vcc
	v_cndmask_b32_e32 v19, v19, v24, vcc
	v_lshlrev_b32_e32 v24, 16, v18
	v_lshl_add_u32 v2, v2, 23, v47
	v_and_or_b32 v2, v24, s67, v2
	v_lshl_or_b32 v2, v19, 21, v2
                                        ; implicit-def: $vgpr19
.LBB0_393:                              ;   in Loop: Header=BB0_114 Depth=3
	s_andn2_saveexec_b64 s[54:55], s[54:55]
; %bb.394:                              ;   in Loop: Header=BB0_114 Depth=3
	v_cmp_lt_i16_e32 vcc, -1, v18
	v_cndmask_b32_e32 v2, v7, v10, vcc
	v_cmp_eq_u32_e32 vcc, 0, v19
	v_cndmask_b32_e32 v2, v11, v2, vcc
; %bb.395:                              ;   in Loop: Header=BB0_114 Depth=3
	s_or_b64 exec, exec, s[54:55]
.LBB0_396:                              ;   in Loop: Header=BB0_114 Depth=3
	s_or_b64 exec, exec, s[52:53]
.LBB0_397:                              ;   in Loop: Header=BB0_114 Depth=3
	s_or_b64 exec, exec, s[50:51]
	v_cmp_ne_u16_e32 vcc, 0, v16
	s_and_saveexec_b64 s[50:51], vcc
	s_cbranch_execz .LBB0_405
; %bb.398:                              ;   in Loop: Header=BB0_114 Depth=3
	v_cmp_ne_u16_e32 vcc, s68, v16
	v_bfrev_b32_e32 v17, 1
	s_and_saveexec_b64 s[52:53], vcc
	s_cbranch_execz .LBB0_404
; %bb.399:                              ;   in Loop: Header=BB0_114 Depth=3
	v_and_b32_e32 v17, 0x7c, v16
	v_and_b32_e32 v19, 3, v16
	v_cmp_ne_u32_e32 vcc, s66, v17
                                        ; implicit-def: $vgpr17
	s_and_saveexec_b64 s[54:55], vcc
	s_xor_b64 s[54:55], exec, s[54:55]
	s_cbranch_execz .LBB0_401
; %bb.400:                              ;   in Loop: Header=BB0_114 Depth=3
	v_ffbh_u32_e32 v25, v19
	v_min_u32_e32 v25, 32, v25
	v_mov_b32_e32 v17, v55
	v_subrev_u32_e32 v36, 29, v25
	v_bfe_u32 v24, v16, 2, 5
	v_lshlrev_b64 v[16:17], v36, v[16:17]
	v_sub_u32_e32 v17, 30, v25
	v_cmp_eq_u32_e32 vcc, 0, v24
	v_and_b32_e32 v16, 3, v16
	v_cndmask_b32_e32 v17, v24, v17, vcc
	v_cndmask_b32_e32 v16, v19, v16, vcc
	v_lshlrev_b32_e32 v19, 16, v54
	v_lshl_add_u32 v17, v17, 23, v47
	v_and_or_b32 v17, v19, s67, v17
	v_lshl_or_b32 v17, v16, 21, v17
                                        ; implicit-def: $vgpr19
.LBB0_401:                              ;   in Loop: Header=BB0_114 Depth=3
	s_andn2_saveexec_b64 s[54:55], s[54:55]
; %bb.402:                              ;   in Loop: Header=BB0_114 Depth=3
	v_cmp_lt_i16_e32 vcc, -1, v54
	v_cndmask_b32_e32 v16, v7, v10, vcc
	v_cmp_eq_u32_e32 vcc, 0, v19
	v_cndmask_b32_e32 v17, v11, v16, vcc
; %bb.403:                              ;   in Loop: Header=BB0_114 Depth=3
	s_or_b64 exec, exec, s[54:55]
.LBB0_404:                              ;   in Loop: Header=BB0_114 Depth=3
	s_or_b64 exec, exec, s[52:53]
.LBB0_405:                              ;   in Loop: Header=BB0_114 Depth=3
	s_or_b64 exec, exec, s[50:51]
	v_max_f32_e32 v16, v17, v17
	v_max_f32_e32 v2, v2, v2
	v_min_f32_e32 v19, v2, v16
.LBB0_406:                              ;   in Loop: Header=BB0_114 Depth=3
	s_or_b64 exec, exec, s[20:21]
	v_and_b32_sdwa v2, v19, s68 dst_sel:DWORD dst_unused:UNUSED_PAD src0_sel:BYTE_3 src1_sel:DWORD
	v_and_b32_e32 v36, 0x7f800000, v19
	v_mov_b32_e32 v37, v55
	v_and_b32_e32 v16, 0x7fffff, v19
	v_mov_b32_e32 v17, v55
	v_or_b32_e32 v25, 0x7b, v2
	v_cmp_ne_u64_e32 vcc, s[40:41], v[36:37]
	s_and_saveexec_b64 s[20:21], vcc
	s_xor_b64 s[50:51], exec, s[20:21]
	s_cbranch_execz .LBB0_416
; %bb.407:                              ;   in Loop: Header=BB0_114 Depth=3
	v_and_b32_e32 v36, 0x7fffffff, v19
	v_mov_b32_e32 v37, v55
	v_cmp_gt_u64_e32 vcc, s[42:43], v[36:37]
	s_and_saveexec_b64 s[52:53], vcc
	s_cbranch_execz .LBB0_415
; %bb.408:                              ;   in Loop: Header=BB0_114 Depth=3
	v_cmp_ne_u32_e32 vcc, 0, v19
	v_mov_b32_e32 v25, 0
	s_and_saveexec_b64 s[54:55], vcc
	s_cbranch_execz .LBB0_414
; %bb.409:                              ;   in Loop: Header=BB0_114 Depth=3
	v_bfe_u32 v19, v19, 23, 8
	v_sub_u32_e32 v25, 0x71, v19
	v_cmp_gt_u32_e32 vcc, s69, v19
	v_cndmask_b32_e32 v25, 0, v25, vcc
	v_cmp_eq_u32_e32 vcc, 0, v19
	v_add_u32_e32 v24, 0xffffff81, v19
	v_cndmask_b32_e32 v40, v25, v48, vcc
	v_cndmask_b32_e32 v19, v24, v30, vcc
	v_add_u32_e32 v24, 21, v40
	v_or_b32_e32 v36, 0x800000, v16
	v_lshlrev_b64 v[24:25], v24, -1
	v_cndmask_b32_e32 v16, v36, v16, vcc
	v_not_b32_e32 v24, v24
	v_and_b32_e32 v36, v16, v24
	v_add_u32_e32 v24, 20, v40
	v_lshrrev_b64 v[16:17], v40, v[16:17]
	v_not_b32_e32 v25, v25
	v_lshlrev_b64 v[50:51], v24, 1
	v_lshrrev_b32_e32 v24, 23, v16
	v_and_b32_e32 v37, 0, v25
	v_add3_u32 v25, v40, v19, v24
	v_bfe_u32 v19, v16, 21, 1
	v_add_u32_e32 v19, -1, v19
	v_cmp_eq_u64_e32 vcc, v[36:37], v[50:51]
	v_cndmask_b32_e32 v19, 0, v19, vcc
	v_add_u32_e32 v19, v19, v16
	v_and_b32_e32 v19, 0x1fffff, v19
	v_add_co_u32_e32 v16, vcc, v19, v16
	v_add_u32_e32 v24, 14, v25
	v_addc_co_u32_e32 v17, vcc, 0, v17, vcc
	v_cmp_ne_u32_e32 vcc, 0, v24
                                        ; implicit-def: $vgpr19
	s_and_saveexec_b64 s[20:21], vcc
	s_xor_b64 s[20:21], exec, s[20:21]
; %bb.410:                              ;   in Loop: Header=BB0_114 Depth=3
	v_add_u32_e32 v19, 15, v25
	v_cmp_lt_u64_e32 vcc, s[44:45], v[16:17]
	v_cndmask_b32_e32 v19, v24, v19, vcc
	v_cndmask_b32_e64 v24, 0, 1, vcc
	v_lshrrev_b64 v[16:17], v24, v[16:17]
; %bb.411:                              ;   in Loop: Header=BB0_114 Depth=3
	s_andn2_saveexec_b64 s[20:21], s[20:21]
; %bb.412:                              ;   in Loop: Header=BB0_114 Depth=3
	v_bfe_u32 v19, v16, 23, 1
; %bb.413:                              ;   in Loop: Header=BB0_114 Depth=3
	s_or_b64 exec, exec, s[20:21]
	v_lshrrev_b64 v[16:17], 21, v[16:17]
	v_cmp_gt_i32_e32 vcc, 32, v19
	v_cndmask_b32_e32 v17, 0, v17, vcc
	v_cndmask_b32_e32 v16, 3, v16, vcc
	v_cmp_eq_u64_e64 s[20:21], 0, v[16:17]
	v_min_i32_e32 v17, 31, v19
	v_cmp_eq_u32_e32 vcc, 0, v19
	v_lshlrev_b32_e32 v17, 2, v17
	v_and_or_b32 v16, v16, 3, v17
	s_and_b64 s[20:21], vcc, s[20:21]
	v_cndmask_b32_e64 v16, v16, 0, s[20:21]
	v_or_b32_e32 v25, v16, v2
.LBB0_414:                              ;   in Loop: Header=BB0_114 Depth=3
	s_or_b64 exec, exec, s[54:55]
.LBB0_415:                              ;   in Loop: Header=BB0_114 Depth=3
	s_or_b64 exec, exec, s[52:53]
                                        ; implicit-def: $vgpr19
                                        ; implicit-def: $vgpr16_vgpr17
.LBB0_416:                              ;   in Loop: Header=BB0_114 Depth=3
	s_andn2_saveexec_b64 s[20:21], s[50:51]
; %bb.417:                              ;   in Loop: Header=BB0_114 Depth=3
	v_or_b32_sdwa v2, v19, s70 dst_sel:DWORD dst_unused:UNUSED_PAD src0_sel:BYTE_3 src1_sel:DWORD
	v_cmp_eq_u64_e32 vcc, 0, v[16:17]
	v_cndmask_b32_e32 v25, v2, v25, vcc
; %bb.418:                              ;   in Loop: Header=BB0_114 Depth=3
	s_or_b64 exec, exec, s[20:21]
	v_lshrrev_b32_e32 v16, 16, v18
	v_lshrrev_b32_e32 v2, 16, v54
	v_cmp_ne_u16_sdwa s[20:21], v16, v55 src0_sel:BYTE_0 src1_sel:DWORD
                                        ; implicit-def: $vgpr19
	s_and_saveexec_b64 vcc, s[14:15]
	s_xor_b64 s[50:51], exec, vcc
	s_cbranch_execz .LBB0_436
; %bb.419:                              ;   in Loop: Header=BB0_114 Depth=3
	v_mov_b32_e32 v19, 0
	v_mov_b32_e32 v17, 0
	s_and_saveexec_b64 s[52:53], s[20:21]
	s_cbranch_execz .LBB0_427
; %bb.420:                              ;   in Loop: Header=BB0_114 Depth=3
	v_cmp_ne_u16_sdwa vcc, v16, s68 src0_sel:BYTE_0 src1_sel:DWORD
	v_bfrev_b32_e32 v17, 1
	s_and_saveexec_b64 s[54:55], vcc
	s_cbranch_execz .LBB0_426
; %bb.421:                              ;   in Loop: Header=BB0_114 Depth=3
	v_and_b32_e32 v17, 0x7c0000, v18
	v_bfe_u32 v24, v18, 16, 2
	v_cmp_ne_u32_e32 vcc, s71, v17
                                        ; implicit-def: $vgpr17
	s_and_saveexec_b64 s[56:57], vcc
	s_xor_b64 s[56:57], exec, s[56:57]
	s_cbranch_execz .LBB0_423
; %bb.422:                              ;   in Loop: Header=BB0_114 Depth=3
	v_ffbh_u32_e32 v36, v24
	v_min_u32_e32 v50, 32, v36
	v_bfe_u32 v17, v18, 18, 5
	v_subrev_u32_e32 v36, 29, v50
	v_lshlrev_b64 v[36:37], v36, v[16:17]
	v_sub_u32_e32 v37, 30, v50
	v_cmp_eq_u32_e32 vcc, 0, v17
	v_cndmask_b32_e32 v17, v17, v37, vcc
	v_and_b32_e32 v36, 3, v36
	v_lshlrev_b32_e32 v16, 24, v16
	v_lshl_add_u32 v17, v17, 23, v47
	v_cndmask_b32_e32 v24, v24, v36, vcc
	v_and_or_b32 v16, v16, s67, v17
	v_lshl_or_b32 v17, v24, 21, v16
                                        ; implicit-def: $vgpr24
                                        ; implicit-def: $vgpr16
.LBB0_423:                              ;   in Loop: Header=BB0_114 Depth=3
	s_andn2_saveexec_b64 s[56:57], s[56:57]
; %bb.424:                              ;   in Loop: Header=BB0_114 Depth=3
	v_cmp_gt_i16_sdwa vcc, sext(v16), v6 src0_sel:BYTE_0 src1_sel:DWORD
	v_cndmask_b32_e32 v16, v7, v10, vcc
	v_cmp_eq_u32_e32 vcc, 0, v24
	v_cndmask_b32_e32 v17, v11, v16, vcc
; %bb.425:                              ;   in Loop: Header=BB0_114 Depth=3
	s_or_b64 exec, exec, s[56:57]
.LBB0_426:                              ;   in Loop: Header=BB0_114 Depth=3
	s_or_b64 exec, exec, s[54:55]
.LBB0_427:                              ;   in Loop: Header=BB0_114 Depth=3
	s_or_b64 exec, exec, s[52:53]
	v_and_b32_sdwa v16, v54, s64 dst_sel:DWORD dst_unused:UNUSED_PAD src0_sel:WORD_1 src1_sel:DWORD
	v_cmp_ne_u16_e32 vcc, 0, v16
	s_and_saveexec_b64 s[52:53], vcc
	s_cbranch_execz .LBB0_435
; %bb.428:                              ;   in Loop: Header=BB0_114 Depth=3
	v_cmp_ne_u16_e32 vcc, s68, v16
	v_bfrev_b32_e32 v19, 1
	s_and_saveexec_b64 s[54:55], vcc
	s_cbranch_execz .LBB0_434
; %bb.429:                              ;   in Loop: Header=BB0_114 Depth=3
	v_and_b32_e32 v19, 0x7c0000, v54
	v_bfe_u32 v16, v54, 16, 2
	v_cmp_ne_u32_e32 vcc, s71, v19
                                        ; implicit-def: $vgpr19
	s_and_saveexec_b64 s[56:57], vcc
	s_xor_b64 s[56:57], exec, s[56:57]
	s_cbranch_execz .LBB0_431
; %bb.430:                              ;   in Loop: Header=BB0_114 Depth=3
	v_ffbh_u32_e32 v24, v16
	v_bfe_u32 v19, v54, 18, 5
	v_min_u32_e32 v24, 32, v24
	v_subrev_u32_e32 v36, 29, v24
	v_sub_u32_e32 v24, 30, v24
	v_cmp_eq_u32_e32 vcc, 0, v19
	v_lshlrev_b64 v[36:37], v36, v[2:3]
	v_cndmask_b32_e32 v19, v19, v24, vcc
	v_and_b32_e32 v36, 3, v36
	v_lshlrev_b32_e32 v2, 24, v2
	v_lshl_add_u32 v19, v19, 23, v47
	v_cndmask_b32_e32 v16, v16, v36, vcc
	v_and_or_b32 v2, v2, s67, v19
	v_lshl_or_b32 v19, v16, 21, v2
                                        ; implicit-def: $vgpr16
                                        ; implicit-def: $vgpr2
.LBB0_431:                              ;   in Loop: Header=BB0_114 Depth=3
	s_andn2_saveexec_b64 s[56:57], s[56:57]
; %bb.432:                              ;   in Loop: Header=BB0_114 Depth=3
	v_cmp_gt_i16_sdwa vcc, sext(v2), v6 src0_sel:BYTE_0 src1_sel:DWORD
	v_cndmask_b32_e32 v2, v7, v10, vcc
	v_cmp_eq_u32_e32 vcc, 0, v16
	v_cndmask_b32_e32 v19, v11, v2, vcc
; %bb.433:                              ;   in Loop: Header=BB0_114 Depth=3
	s_or_b64 exec, exec, s[56:57]
.LBB0_434:                              ;   in Loop: Header=BB0_114 Depth=3
	s_or_b64 exec, exec, s[54:55]
.LBB0_435:                              ;   in Loop: Header=BB0_114 Depth=3
	s_or_b64 exec, exec, s[52:53]
	v_max_f32_e32 v2, v19, v19
	v_max_f32_e32 v16, v17, v17
	;; [unrolled: 1-line block ×3, first 2 shown]
                                        ; implicit-def: $vgpr16
                                        ; implicit-def: $vgpr2
.LBB0_436:                              ;   in Loop: Header=BB0_114 Depth=3
	s_andn2_saveexec_b64 s[50:51], s[50:51]
	s_cbranch_execz .LBB0_454
; %bb.437:                              ;   in Loop: Header=BB0_114 Depth=3
	v_mov_b32_e32 v19, 0
	v_mov_b32_e32 v17, 0
	s_and_saveexec_b64 s[52:53], s[20:21]
	s_cbranch_execz .LBB0_445
; %bb.438:                              ;   in Loop: Header=BB0_114 Depth=3
	v_cmp_ne_u16_sdwa vcc, v16, s68 src0_sel:BYTE_0 src1_sel:DWORD
	v_bfrev_b32_e32 v17, 1
	s_and_saveexec_b64 s[20:21], vcc
	s_cbranch_execz .LBB0_444
; %bb.439:                              ;   in Loop: Header=BB0_114 Depth=3
	v_and_b32_e32 v17, 0x7c0000, v18
	v_bfe_u32 v24, v18, 16, 2
	v_cmp_ne_u32_e32 vcc, s71, v17
                                        ; implicit-def: $vgpr17
	s_and_saveexec_b64 s[54:55], vcc
	s_xor_b64 s[54:55], exec, s[54:55]
	s_cbranch_execz .LBB0_441
; %bb.440:                              ;   in Loop: Header=BB0_114 Depth=3
	v_ffbh_u32_e32 v36, v24
	v_min_u32_e32 v50, 32, v36
	v_bfe_u32 v17, v18, 18, 5
	v_subrev_u32_e32 v36, 29, v50
	v_lshlrev_b64 v[36:37], v36, v[16:17]
	v_sub_u32_e32 v37, 30, v50
	v_cmp_eq_u32_e32 vcc, 0, v17
	v_cndmask_b32_e32 v17, v17, v37, vcc
	v_and_b32_e32 v36, 3, v36
	v_lshlrev_b32_e32 v16, 24, v16
	v_lshl_add_u32 v17, v17, 23, v47
	v_cndmask_b32_e32 v24, v24, v36, vcc
	v_and_or_b32 v16, v16, s67, v17
	v_lshl_or_b32 v17, v24, 21, v16
                                        ; implicit-def: $vgpr24
                                        ; implicit-def: $vgpr16
.LBB0_441:                              ;   in Loop: Header=BB0_114 Depth=3
	s_andn2_saveexec_b64 s[54:55], s[54:55]
; %bb.442:                              ;   in Loop: Header=BB0_114 Depth=3
	v_cmp_gt_i16_sdwa vcc, sext(v16), v6 src0_sel:BYTE_0 src1_sel:DWORD
	v_cndmask_b32_e32 v16, v7, v10, vcc
	v_cmp_eq_u32_e32 vcc, 0, v24
	v_cndmask_b32_e32 v17, v11, v16, vcc
; %bb.443:                              ;   in Loop: Header=BB0_114 Depth=3
	s_or_b64 exec, exec, s[54:55]
.LBB0_444:                              ;   in Loop: Header=BB0_114 Depth=3
	s_or_b64 exec, exec, s[20:21]
.LBB0_445:                              ;   in Loop: Header=BB0_114 Depth=3
	s_or_b64 exec, exec, s[52:53]
	v_and_b32_sdwa v16, v54, s64 dst_sel:DWORD dst_unused:UNUSED_PAD src0_sel:WORD_1 src1_sel:DWORD
	v_cmp_ne_u16_e32 vcc, 0, v16
	s_and_saveexec_b64 s[20:21], vcc
	s_cbranch_execz .LBB0_453
; %bb.446:                              ;   in Loop: Header=BB0_114 Depth=3
	v_cmp_ne_u16_e32 vcc, s68, v16
	v_bfrev_b32_e32 v19, 1
	s_and_saveexec_b64 s[52:53], vcc
	s_cbranch_execz .LBB0_452
; %bb.447:                              ;   in Loop: Header=BB0_114 Depth=3
	v_and_b32_e32 v19, 0x7c0000, v54
	v_bfe_u32 v16, v54, 16, 2
	v_cmp_ne_u32_e32 vcc, s71, v19
                                        ; implicit-def: $vgpr19
	s_and_saveexec_b64 s[54:55], vcc
	s_xor_b64 s[54:55], exec, s[54:55]
	s_cbranch_execz .LBB0_449
; %bb.448:                              ;   in Loop: Header=BB0_114 Depth=3
	v_ffbh_u32_e32 v24, v16
	v_bfe_u32 v19, v54, 18, 5
	v_min_u32_e32 v24, 32, v24
	v_subrev_u32_e32 v36, 29, v24
	v_sub_u32_e32 v24, 30, v24
	v_cmp_eq_u32_e32 vcc, 0, v19
	v_lshlrev_b64 v[36:37], v36, v[2:3]
	v_cndmask_b32_e32 v19, v19, v24, vcc
	v_and_b32_e32 v36, 3, v36
	v_lshlrev_b32_e32 v2, 24, v2
	v_lshl_add_u32 v19, v19, 23, v47
	v_cndmask_b32_e32 v16, v16, v36, vcc
	v_and_or_b32 v2, v2, s67, v19
	v_lshl_or_b32 v19, v16, 21, v2
                                        ; implicit-def: $vgpr16
                                        ; implicit-def: $vgpr2
.LBB0_449:                              ;   in Loop: Header=BB0_114 Depth=3
	s_andn2_saveexec_b64 s[54:55], s[54:55]
; %bb.450:                              ;   in Loop: Header=BB0_114 Depth=3
	v_cmp_gt_i16_sdwa vcc, sext(v2), v6 src0_sel:BYTE_0 src1_sel:DWORD
	v_cndmask_b32_e32 v2, v7, v10, vcc
	v_cmp_eq_u32_e32 vcc, 0, v16
	v_cndmask_b32_e32 v19, v11, v2, vcc
; %bb.451:                              ;   in Loop: Header=BB0_114 Depth=3
	s_or_b64 exec, exec, s[54:55]
.LBB0_452:                              ;   in Loop: Header=BB0_114 Depth=3
	s_or_b64 exec, exec, s[52:53]
.LBB0_453:                              ;   in Loop: Header=BB0_114 Depth=3
	s_or_b64 exec, exec, s[20:21]
	v_max_f32_e32 v2, v19, v19
	v_max_f32_e32 v16, v17, v17
	v_min_f32_e32 v19, v16, v2
.LBB0_454:                              ;   in Loop: Header=BB0_114 Depth=3
	s_or_b64 exec, exec, s[50:51]
	v_and_b32_sdwa v2, v19, s68 dst_sel:DWORD dst_unused:UNUSED_PAD src0_sel:BYTE_3 src1_sel:DWORD
	v_and_b32_e32 v50, 0x7f800000, v19
	v_mov_b32_e32 v51, v55
	v_and_b32_e32 v16, 0x7fffff, v19
	v_mov_b32_e32 v17, v55
	v_or_b32_e32 v36, 0x7b, v2
	v_cmp_ne_u64_e32 vcc, s[40:41], v[50:51]
	s_and_saveexec_b64 s[20:21], vcc
	s_xor_b64 s[50:51], exec, s[20:21]
	s_cbranch_execz .LBB0_464
; %bb.455:                              ;   in Loop: Header=BB0_114 Depth=3
	v_and_b32_e32 v50, 0x7fffffff, v19
	v_mov_b32_e32 v51, v55
	v_cmp_gt_u64_e32 vcc, s[42:43], v[50:51]
	s_and_saveexec_b64 s[52:53], vcc
	s_cbranch_execz .LBB0_463
; %bb.456:                              ;   in Loop: Header=BB0_114 Depth=3
	v_cmp_ne_u32_e32 vcc, 0, v19
	v_mov_b32_e32 v36, 0
	s_and_saveexec_b64 s[54:55], vcc
	s_cbranch_execz .LBB0_462
; %bb.457:                              ;   in Loop: Header=BB0_114 Depth=3
	v_bfe_u32 v19, v19, 23, 8
	v_sub_u32_e32 v36, 0x71, v19
	v_cmp_gt_u32_e32 vcc, s69, v19
	v_add_u32_e32 v24, 0xffffff81, v19
	v_cndmask_b32_e32 v36, 0, v36, vcc
	v_cmp_eq_u32_e32 vcc, 0, v19
	v_cndmask_b32_e32 v19, v24, v30, vcc
	v_cndmask_b32_e32 v24, v36, v48, vcc
	v_or_b32_e32 v37, 0x800000, v16
	v_add_u32_e32 v36, 21, v24
	v_cndmask_b32_e32 v16, v37, v16, vcc
	v_lshlrev_b64 v[36:37], v36, -1
	v_not_b32_e32 v36, v36
	v_and_b32_e32 v50, v16, v36
	v_add_u32_e32 v36, 20, v24
	v_lshrrev_b64 v[16:17], v24, v[16:17]
	v_not_b32_e32 v37, v37
	v_lshlrev_b64 v[40:41], v36, 1
	v_lshrrev_b32_e32 v36, 23, v16
	v_and_b32_e32 v51, 0, v37
	v_add3_u32 v36, v24, v19, v36
	v_bfe_u32 v19, v16, 21, 1
	v_add_u32_e32 v19, -1, v19
	v_cmp_eq_u64_e32 vcc, v[50:51], v[40:41]
	v_cndmask_b32_e32 v19, 0, v19, vcc
	v_add_u32_e32 v19, v19, v16
	v_and_b32_e32 v19, 0x1fffff, v19
	v_add_co_u32_e32 v16, vcc, v19, v16
	v_add_u32_e32 v24, 14, v36
	v_addc_co_u32_e32 v17, vcc, 0, v17, vcc
	v_cmp_ne_u32_e32 vcc, 0, v24
                                        ; implicit-def: $vgpr19
	s_and_saveexec_b64 s[20:21], vcc
	s_xor_b64 s[20:21], exec, s[20:21]
; %bb.458:                              ;   in Loop: Header=BB0_114 Depth=3
	v_add_u32_e32 v19, 15, v36
	v_cmp_lt_u64_e32 vcc, s[44:45], v[16:17]
	v_cndmask_b32_e32 v19, v24, v19, vcc
	v_cndmask_b32_e64 v24, 0, 1, vcc
	v_lshrrev_b64 v[16:17], v24, v[16:17]
; %bb.459:                              ;   in Loop: Header=BB0_114 Depth=3
	s_andn2_saveexec_b64 s[20:21], s[20:21]
; %bb.460:                              ;   in Loop: Header=BB0_114 Depth=3
	v_bfe_u32 v19, v16, 23, 1
; %bb.461:                              ;   in Loop: Header=BB0_114 Depth=3
	s_or_b64 exec, exec, s[20:21]
	v_lshrrev_b64 v[16:17], 21, v[16:17]
	v_cmp_gt_i32_e32 vcc, 32, v19
	v_cndmask_b32_e32 v17, 0, v17, vcc
	v_cndmask_b32_e32 v16, 3, v16, vcc
	v_cmp_eq_u64_e64 s[20:21], 0, v[16:17]
	v_min_i32_e32 v17, 31, v19
	v_cmp_eq_u32_e32 vcc, 0, v19
	v_lshlrev_b32_e32 v17, 2, v17
	v_and_or_b32 v16, v16, 3, v17
	s_and_b64 s[20:21], vcc, s[20:21]
	v_cndmask_b32_e64 v16, v16, 0, s[20:21]
	v_or_b32_e32 v36, v16, v2
.LBB0_462:                              ;   in Loop: Header=BB0_114 Depth=3
	s_or_b64 exec, exec, s[54:55]
.LBB0_463:                              ;   in Loop: Header=BB0_114 Depth=3
	s_or_b64 exec, exec, s[52:53]
                                        ; implicit-def: $vgpr19
                                        ; implicit-def: $vgpr16_vgpr17
.LBB0_464:                              ;   in Loop: Header=BB0_114 Depth=3
	s_andn2_saveexec_b64 s[20:21], s[50:51]
; %bb.465:                              ;   in Loop: Header=BB0_114 Depth=3
	v_or_b32_sdwa v2, v19, s70 dst_sel:DWORD dst_unused:UNUSED_PAD src0_sel:BYTE_3 src1_sel:DWORD
	v_cmp_eq_u64_e32 vcc, 0, v[16:17]
	v_cndmask_b32_e32 v36, v2, v36, vcc
; %bb.466:                              ;   in Loop: Header=BB0_114 Depth=3
	s_or_b64 exec, exec, s[20:21]
	v_mov_b32_e32 v40, v55
	v_mov_b32_e32 v41, v18
	v_lshrrev_b32_e32 v24, 24, v18
	v_lshrrev_b32_e32 v2, 24, v54
	v_mov_b32_e32 v16, v55
	v_mov_b32_e32 v17, v54
	v_cmp_lt_u64_e32 vcc, s[38:39], v[40:41]
                                        ; implicit-def: $vgpr37
	s_and_saveexec_b64 s[20:21], s[14:15]
	s_xor_b64 s[50:51], exec, s[20:21]
	s_cbranch_execz .LBB0_484
; %bb.467:                              ;   in Loop: Header=BB0_114 Depth=3
	v_mov_b32_e32 v37, 0
	v_mov_b32_e32 v19, 0
	s_and_saveexec_b64 s[52:53], vcc
	s_cbranch_execz .LBB0_475
; %bb.468:                              ;   in Loop: Header=BB0_114 Depth=3
	v_cmp_ne_u32_e64 s[20:21], s68, v24
	v_bfrev_b32_e32 v19, 1
	s_and_saveexec_b64 s[54:55], s[20:21]
	s_cbranch_execz .LBB0_474
; %bb.469:                              ;   in Loop: Header=BB0_114 Depth=3
	v_and_b32_e32 v19, 0x7c000000, v18
	v_bfe_u32 v46, v18, 24, 2
	v_cmp_ne_u32_e64 s[20:21], s72, v19
                                        ; implicit-def: $vgpr19
	s_and_saveexec_b64 s[56:57], s[20:21]
	s_xor_b64 s[56:57], exec, s[56:57]
	s_cbranch_execz .LBB0_471
; %bb.470:                              ;   in Loop: Header=BB0_114 Depth=3
	v_ffbh_u32_e32 v50, v46
	v_min_u32_e32 v40, 32, v50
	v_bfe_u32 v19, v18, 26, 5
	v_subrev_u32_e32 v50, 29, v40
	v_lshlrev_b64 v[50:51], v50, v[24:25]
	v_sub_u32_e32 v24, 30, v40
	v_cmp_eq_u32_e64 s[20:21], 0, v19
	v_cndmask_b32_e64 v19, v19, v24, s[20:21]
	v_and_b32_e32 v50, 3, v50
	v_lshl_add_u32 v19, v19, 23, v47
	v_cndmask_b32_e64 v24, v46, v50, s[20:21]
	v_and_or_b32 v18, v18, s67, v19
	v_lshl_or_b32 v19, v24, 21, v18
                                        ; implicit-def: $vgpr46
                                        ; implicit-def: $vgpr40_vgpr41
.LBB0_471:                              ;   in Loop: Header=BB0_114 Depth=3
	s_andn2_saveexec_b64 s[56:57], s[56:57]
; %bb.472:                              ;   in Loop: Header=BB0_114 Depth=3
	v_cmp_lt_i64_e64 s[20:21], -1, v[40:41]
	v_cndmask_b32_e64 v18, v7, v10, s[20:21]
	v_cmp_eq_u32_e64 s[20:21], 0, v46
	v_cndmask_b32_e64 v19, v11, v18, s[20:21]
; %bb.473:                              ;   in Loop: Header=BB0_114 Depth=3
	s_or_b64 exec, exec, s[56:57]
.LBB0_474:                              ;   in Loop: Header=BB0_114 Depth=3
	s_or_b64 exec, exec, s[54:55]
.LBB0_475:                              ;   in Loop: Header=BB0_114 Depth=3
	s_or_b64 exec, exec, s[52:53]
	v_cmp_lt_u32_e64 s[20:21], s39, v54
	s_and_saveexec_b64 s[52:53], s[20:21]
	s_cbranch_execz .LBB0_483
; %bb.476:                              ;   in Loop: Header=BB0_114 Depth=3
	v_cmp_ne_u32_e64 s[20:21], s68, v2
	v_bfrev_b32_e32 v37, 1
	s_and_saveexec_b64 s[54:55], s[20:21]
	s_cbranch_execz .LBB0_482
; %bb.477:                              ;   in Loop: Header=BB0_114 Depth=3
	v_and_b32_e32 v24, 0x7c000000, v54
	v_bfe_u32 v18, v54, 24, 2
	v_cmp_ne_u32_e64 s[20:21], s72, v24
                                        ; implicit-def: $vgpr37
	s_and_saveexec_b64 s[56:57], s[20:21]
	s_xor_b64 s[56:57], exec, s[56:57]
	s_cbranch_execz .LBB0_479
; %bb.478:                              ;   in Loop: Header=BB0_114 Depth=3
	v_ffbh_u32_e32 v16, v18
	v_min_u32_e32 v37, 32, v16
	v_bfe_u32 v24, v54, 26, 5
	v_subrev_u32_e32 v16, 29, v37
	v_lshlrev_b64 v[16:17], v16, v[2:3]
	v_sub_u32_e32 v2, 30, v37
	v_cmp_eq_u32_e64 s[20:21], 0, v24
	v_cndmask_b32_e64 v2, v24, v2, s[20:21]
	v_and_b32_e32 v16, 3, v16
	v_lshl_add_u32 v2, v2, 23, v47
	v_cndmask_b32_e64 v16, v18, v16, s[20:21]
	v_and_or_b32 v2, v54, s67, v2
	v_lshl_or_b32 v37, v16, 21, v2
                                        ; implicit-def: $vgpr18
                                        ; implicit-def: $vgpr16_vgpr17
.LBB0_479:                              ;   in Loop: Header=BB0_114 Depth=3
	s_andn2_saveexec_b64 s[56:57], s[56:57]
; %bb.480:                              ;   in Loop: Header=BB0_114 Depth=3
	v_cmp_lt_i64_e64 s[20:21], -1, v[16:17]
	v_cndmask_b32_e64 v2, v7, v10, s[20:21]
	v_cmp_eq_u32_e64 s[20:21], 0, v18
	v_cndmask_b32_e64 v37, v11, v2, s[20:21]
; %bb.481:                              ;   in Loop: Header=BB0_114 Depth=3
	s_or_b64 exec, exec, s[56:57]
.LBB0_482:                              ;   in Loop: Header=BB0_114 Depth=3
	s_or_b64 exec, exec, s[54:55]
.LBB0_483:                              ;   in Loop: Header=BB0_114 Depth=3
	s_or_b64 exec, exec, s[52:53]
	v_max_f32_e32 v2, v37, v37
	v_max_f32_e32 v16, v19, v19
	;; [unrolled: 1-line block ×3, first 2 shown]
                                        ; implicit-def: $vgpr2
                                        ; implicit-def: $vgpr24
                                        ; implicit-def: $vgpr16_vgpr17
                                        ; implicit-def: $vgpr40_vgpr41
                                        ; implicit-def: $vgpr18_vgpr19
.LBB0_484:                              ;   in Loop: Header=BB0_114 Depth=3
	s_andn2_saveexec_b64 s[20:21], s[50:51]
	s_cbranch_execz .LBB0_502
; %bb.485:                              ;   in Loop: Header=BB0_114 Depth=3
	v_mov_b32_e32 v37, 0
	v_mov_b32_e32 v19, 0
	s_and_saveexec_b64 s[50:51], vcc
	s_cbranch_execz .LBB0_493
; %bb.486:                              ;   in Loop: Header=BB0_114 Depth=3
	v_cmp_ne_u32_e32 vcc, s68, v24
	v_bfrev_b32_e32 v19, 1
	s_and_saveexec_b64 s[52:53], vcc
	s_cbranch_execz .LBB0_492
; %bb.487:                              ;   in Loop: Header=BB0_114 Depth=3
	v_and_b32_e32 v19, 0x7c000000, v18
	v_bfe_u32 v46, v18, 24, 2
	v_cmp_ne_u32_e32 vcc, s72, v19
                                        ; implicit-def: $vgpr19
	s_and_saveexec_b64 s[54:55], vcc
	s_xor_b64 s[54:55], exec, s[54:55]
	s_cbranch_execz .LBB0_489
; %bb.488:                              ;   in Loop: Header=BB0_114 Depth=3
	v_ffbh_u32_e32 v50, v46
	v_min_u32_e32 v40, 32, v50
	v_bfe_u32 v19, v18, 26, 5
	v_subrev_u32_e32 v50, 29, v40
	v_lshlrev_b64 v[50:51], v50, v[24:25]
	v_sub_u32_e32 v24, 30, v40
	v_cmp_eq_u32_e32 vcc, 0, v19
	v_cndmask_b32_e32 v19, v19, v24, vcc
	v_and_b32_e32 v50, 3, v50
	v_lshl_add_u32 v19, v19, 23, v47
	v_cndmask_b32_e32 v24, v46, v50, vcc
	v_and_or_b32 v18, v18, s67, v19
	v_lshl_or_b32 v19, v24, 21, v18
                                        ; implicit-def: $vgpr46
                                        ; implicit-def: $vgpr40_vgpr41
.LBB0_489:                              ;   in Loop: Header=BB0_114 Depth=3
	s_andn2_saveexec_b64 s[54:55], s[54:55]
; %bb.490:                              ;   in Loop: Header=BB0_114 Depth=3
	v_cmp_lt_i64_e32 vcc, -1, v[40:41]
	v_cndmask_b32_e32 v18, v7, v10, vcc
	v_cmp_eq_u32_e32 vcc, 0, v46
	v_cndmask_b32_e32 v19, v11, v18, vcc
; %bb.491:                              ;   in Loop: Header=BB0_114 Depth=3
	s_or_b64 exec, exec, s[54:55]
.LBB0_492:                              ;   in Loop: Header=BB0_114 Depth=3
	s_or_b64 exec, exec, s[52:53]
.LBB0_493:                              ;   in Loop: Header=BB0_114 Depth=3
	s_or_b64 exec, exec, s[50:51]
	v_cmp_lt_u32_e32 vcc, s39, v54
	s_and_saveexec_b64 s[50:51], vcc
	s_cbranch_execz .LBB0_501
; %bb.494:                              ;   in Loop: Header=BB0_114 Depth=3
	v_cmp_ne_u32_e32 vcc, s68, v2
	v_bfrev_b32_e32 v37, 1
	s_and_saveexec_b64 s[52:53], vcc
	s_cbranch_execz .LBB0_500
; %bb.495:                              ;   in Loop: Header=BB0_114 Depth=3
	v_and_b32_e32 v24, 0x7c000000, v54
	v_bfe_u32 v18, v54, 24, 2
	v_cmp_ne_u32_e32 vcc, s72, v24
                                        ; implicit-def: $vgpr37
	s_and_saveexec_b64 s[54:55], vcc
	s_xor_b64 s[54:55], exec, s[54:55]
	s_cbranch_execz .LBB0_497
; %bb.496:                              ;   in Loop: Header=BB0_114 Depth=3
	v_ffbh_u32_e32 v16, v18
	v_min_u32_e32 v37, 32, v16
	v_bfe_u32 v24, v54, 26, 5
	v_subrev_u32_e32 v16, 29, v37
	v_lshlrev_b64 v[16:17], v16, v[2:3]
	v_sub_u32_e32 v2, 30, v37
	v_cmp_eq_u32_e32 vcc, 0, v24
	v_cndmask_b32_e32 v2, v24, v2, vcc
	v_and_b32_e32 v16, 3, v16
	v_lshl_add_u32 v2, v2, 23, v47
	v_cndmask_b32_e32 v16, v18, v16, vcc
	v_and_or_b32 v2, v54, s67, v2
	v_lshl_or_b32 v37, v16, 21, v2
                                        ; implicit-def: $vgpr18
                                        ; implicit-def: $vgpr16_vgpr17
.LBB0_497:                              ;   in Loop: Header=BB0_114 Depth=3
	s_andn2_saveexec_b64 s[54:55], s[54:55]
; %bb.498:                              ;   in Loop: Header=BB0_114 Depth=3
	v_cmp_lt_i64_e32 vcc, -1, v[16:17]
	v_cndmask_b32_e32 v2, v7, v10, vcc
	v_cmp_eq_u32_e32 vcc, 0, v18
	v_cndmask_b32_e32 v37, v11, v2, vcc
; %bb.499:                              ;   in Loop: Header=BB0_114 Depth=3
	s_or_b64 exec, exec, s[54:55]
.LBB0_500:                              ;   in Loop: Header=BB0_114 Depth=3
	s_or_b64 exec, exec, s[52:53]
.LBB0_501:                              ;   in Loop: Header=BB0_114 Depth=3
	s_or_b64 exec, exec, s[50:51]
	v_max_f32_e32 v2, v37, v37
	v_max_f32_e32 v16, v19, v19
	v_min_f32_e32 v37, v16, v2
.LBB0_502:                              ;   in Loop: Header=BB0_114 Depth=3
	s_or_b64 exec, exec, s[20:21]
	v_and_b32_sdwa v2, v37, s68 dst_sel:DWORD dst_unused:UNUSED_PAD src0_sel:BYTE_3 src1_sel:DWORD
	v_and_b32_e32 v18, 0x7f800000, v37
	v_mov_b32_e32 v19, v55
	v_and_b32_e32 v54, 0x7fffff, v37
	v_or_b32_e32 v16, 0x7b, v2
	v_cmp_ne_u64_e32 vcc, s[40:41], v[18:19]
	s_and_saveexec_b64 s[20:21], vcc
	s_xor_b64 s[50:51], exec, s[20:21]
	s_cbranch_execz .LBB0_512
; %bb.503:                              ;   in Loop: Header=BB0_114 Depth=3
	v_and_b32_e32 v18, 0x7fffffff, v37
	v_mov_b32_e32 v19, v55
	v_cmp_gt_u64_e32 vcc, s[42:43], v[18:19]
	s_and_saveexec_b64 s[52:53], vcc
	s_cbranch_execz .LBB0_511
; %bb.504:                              ;   in Loop: Header=BB0_114 Depth=3
	v_cmp_ne_u32_e32 vcc, 0, v37
	v_mov_b32_e32 v16, 0
	s_and_saveexec_b64 s[54:55], vcc
	s_cbranch_execz .LBB0_510
; %bb.505:                              ;   in Loop: Header=BB0_114 Depth=3
	v_bfe_u32 v16, v37, 23, 8
	v_sub_u32_e32 v18, 0x71, v16
	v_cmp_gt_u32_e32 vcc, s69, v16
	v_cndmask_b32_e32 v18, 0, v18, vcc
	v_cmp_eq_u32_e32 vcc, 0, v16
	v_or_b32_e32 v19, 0x800000, v54
	v_cndmask_b32_e32 v18, v18, v48, vcc
	v_add_u32_e32 v17, 0xffffff81, v16
	v_cndmask_b32_e32 v54, v19, v54, vcc
	v_add_u32_e32 v16, 21, v18
	v_cndmask_b32_e32 v24, v17, v30, vcc
	v_lshlrev_b64 v[16:17], v16, -1
	v_add_u32_e32 v19, 20, v18
	v_lshrrev_b64 v[40:41], v18, v[54:55]
	v_not_b32_e32 v17, v17
	v_not_b32_e32 v16, v16
	v_lshlrev_b64 v[50:51], v19, 1
	v_lshrrev_b32_e32 v19, 23, v40
	v_and_b32_e32 v17, 0, v17
	v_and_b32_e32 v16, v54, v16
	v_add3_u32 v24, v18, v24, v19
	v_bfe_u32 v18, v40, 21, 1
	v_add_u32_e32 v18, -1, v18
	v_cmp_eq_u64_e32 vcc, v[16:17], v[50:51]
	v_cndmask_b32_e32 v16, 0, v18, vcc
	v_add_u32_e32 v16, v16, v40
	v_and_b32_e32 v16, 0x1fffff, v16
	v_add_co_u32_e32 v16, vcc, v16, v40
	v_add_u32_e32 v19, 14, v24
	v_addc_co_u32_e32 v17, vcc, 0, v41, vcc
	v_cmp_ne_u32_e32 vcc, 0, v19
                                        ; implicit-def: $vgpr18
	s_and_saveexec_b64 s[20:21], vcc
	s_xor_b64 s[20:21], exec, s[20:21]
; %bb.506:                              ;   in Loop: Header=BB0_114 Depth=3
	v_add_u32_e32 v18, 15, v24
	v_cmp_lt_u64_e32 vcc, s[44:45], v[16:17]
	v_cndmask_b32_e32 v18, v19, v18, vcc
	v_cndmask_b32_e64 v19, 0, 1, vcc
	v_lshrrev_b64 v[16:17], v19, v[16:17]
; %bb.507:                              ;   in Loop: Header=BB0_114 Depth=3
	s_andn2_saveexec_b64 s[20:21], s[20:21]
; %bb.508:                              ;   in Loop: Header=BB0_114 Depth=3
	v_bfe_u32 v18, v16, 23, 1
; %bb.509:                              ;   in Loop: Header=BB0_114 Depth=3
	s_or_b64 exec, exec, s[20:21]
	v_lshrrev_b64 v[16:17], 21, v[16:17]
	v_cmp_gt_i32_e32 vcc, 32, v18
	v_cndmask_b32_e32 v17, 0, v17, vcc
	v_cndmask_b32_e32 v16, 3, v16, vcc
	v_cmp_eq_u64_e64 s[20:21], 0, v[16:17]
	v_min_i32_e32 v17, 31, v18
	v_lshlrev_b32_e32 v17, 2, v17
	v_cmp_eq_u32_e32 vcc, 0, v18
	v_and_b32_e32 v17, 0xfc, v17
	v_and_or_b32 v16, v16, 3, v17
	s_and_b64 s[20:21], vcc, s[20:21]
	v_cndmask_b32_e64 v16, v16, 0, s[20:21]
	v_or_b32_e32 v16, v16, v2
.LBB0_510:                              ;   in Loop: Header=BB0_114 Depth=3
	s_or_b64 exec, exec, s[54:55]
.LBB0_511:                              ;   in Loop: Header=BB0_114 Depth=3
	s_or_b64 exec, exec, s[52:53]
                                        ; implicit-def: $vgpr37
.LBB0_512:                              ;   in Loop: Header=BB0_114 Depth=3
	s_andn2_saveexec_b64 s[20:21], s[50:51]
	s_cbranch_execz .LBB0_113
; %bb.513:                              ;   in Loop: Header=BB0_114 Depth=3
	v_or_b32_sdwa v2, v37, s70 dst_sel:DWORD dst_unused:UNUSED_PAD src0_sel:BYTE_3 src1_sel:DWORD
	v_cmp_eq_u64_e32 vcc, 0, v[54:55]
	v_cndmask_b32_e32 v16, v2, v16, vcc
	s_branch .LBB0_113
.LBB0_514:                              ;   in Loop: Header=BB0_70 Depth=2
	s_or_b64 exec, exec, s[48:49]
	v_accvgpr_read_b32 v61, a7
	v_accvgpr_read_b32 v33, a11
	;; [unrolled: 1-line block ×6, first 2 shown]
	s_or_b64 exec, exec, s[46:47]
	s_and_saveexec_b64 s[20:21], s[10:11]
	s_cbranch_execz .LBB0_74
.LBB0_515:                              ;   in Loop: Header=BB0_70 Depth=2
	s_and_saveexec_b64 vcc, s[30:31]
	s_xor_b64 s[46:47], exec, vcc
	s_cbranch_execz .LBB0_530
; %bb.516:                              ;   in Loop: Header=BB0_70 Depth=2
	s_and_saveexec_b64 s[48:49], s[12:13]
	s_cbranch_execz .LBB0_529
; %bb.517:                              ;   in Loop: Header=BB0_70 Depth=2
	s_mov_b64 s[52:53], exec
	v_mbcnt_lo_u32_b32 v1, s52, 0
	v_mbcnt_hi_u32_b32 v1, s53, v1
	v_cmp_eq_u32_e32 vcc, 0, v1
	s_waitcnt vmcnt(0) lgkmcnt(0)
	buffer_wbinvl1_vol
	s_and_saveexec_b64 s[50:51], vcc
	s_cbranch_execz .LBB0_519
; %bb.518:                              ;   in Loop: Header=BB0_70 Depth=2
	s_bcnt1_i32_b64 vcc_lo, s[52:53]
	v_mov_b32_e32 v54, vcc_lo
	ds_add_u64 v0, v[54:55]
	s_trap 2
.LBB0_519:                              ;   in Loop: Header=BB0_70 Depth=2
	s_or_b64 exec, exec, s[50:51]
	s_trap 2
	ds_read_b64 v[2:3], v0
	v_accvgpr_read_b32 v4, a30
	v_add_co_u32_e32 v42, vcc, v42, v4
	v_accvgpr_read_b32 v1, a41
	v_addc_co_u32_e32 v43, vcc, v43, v1, vcc
	s_waitcnt lgkmcnt(0)
	v_cmp_lt_u64_e32 vcc, v[2:3], v[42:43]
	s_and_saveexec_b64 s[50:51], vcc
	s_cbranch_execz .LBB0_528
; %bb.520:                              ;   in Loop: Header=BB0_70 Depth=2
	s_mov_b32 s79, 0
	s_mov_b64 s[52:53], 0
                                        ; implicit-def: $sgpr54_sgpr55
                                        ; implicit-def: $sgpr56_sgpr57
	s_branch .LBB0_522
.LBB0_521:                              ;   in Loop: Header=BB0_522 Depth=3
	s_or_b64 exec, exec, s[60:61]
	s_and_b64 vcc, exec, vcc
	s_or_b64 s[52:53], vcc, s[52:53]
	s_andn2_b64 vcc, s[54:55], exec
	s_and_b64 s[54:55], s[56:57], exec
	s_or_b64 s[54:55], vcc, s[54:55]
	s_andn2_b64 exec, exec, s[52:53]
	s_cbranch_execz .LBB0_526
.LBB0_522:                              ;   Parent Loop BB0_21 Depth=1
                                        ;     Parent Loop BB0_70 Depth=2
                                        ; =>    This Inner Loop Header: Depth=3
	s_add_i32 s79, s79, 1
	s_cmpk_lg_i32 s79, 0x2710
	s_cselect_b64 s[58:59], -1, 0
	s_and_b64 vcc, exec, s[58:59]
                                        ; implicit-def: $sgpr60_sgpr61
	s_cbranch_vccnz .LBB0_524
; %bb.523:                              ;   in Loop: Header=BB0_522 Depth=3
	s_trap 2
	ds_read_b64 v[2:3], v0
	s_andn2_b64 s[58:59], s[58:59], exec
	s_mov_b32 s79, 0
	s_mov_b64 s[60:61], -1
	s_waitcnt lgkmcnt(0)
	flat_load_dword v1, v[2:3] glc
	s_waitcnt vmcnt(0) lgkmcnt(0)
	buffer_invl2
	buffer_wbinvl1_vol
	v_cmp_eq_u32_e32 vcc, 0, v1
	s_and_b64 vcc, vcc, exec
	s_or_b64 s[58:59], s[58:59], vcc
.LBB0_524:                              ;   in Loop: Header=BB0_522 Depth=3
	s_andn2_b64 s[56:57], s[56:57], exec
	s_and_b64 s[60:61], s[60:61], exec
	s_mov_b64 vcc, -1
	s_or_b64 s[56:57], s[56:57], s[60:61]
	s_and_saveexec_b64 s[60:61], s[58:59]
	s_cbranch_execz .LBB0_521
; %bb.525:                              ;   in Loop: Header=BB0_522 Depth=3
	s_sleep 1
	s_trap 2
	ds_read_b64 v[2:3], v0
	s_andn2_b64 s[56:57], s[56:57], exec
	s_waitcnt lgkmcnt(0)
	v_cmp_ge_u64_e32 vcc, v[2:3], v[42:43]
	s_orn2_b64 vcc, vcc, exec
	s_branch .LBB0_521
.LBB0_526:                              ;   in Loop: Header=BB0_70 Depth=2
	s_or_b64 exec, exec, s[52:53]
	s_and_saveexec_b64 vcc, s[54:55]
	s_xor_b64 vcc, exec, vcc
	s_cbranch_execz .LBB0_528
; %bb.527:                              ;   in Loop: Header=BB0_70 Depth=2
	v_mov_b32_e32 v1, 1
	ds_write_b32 v0, v1
	s_trap 2
.LBB0_528:                              ;   in Loop: Header=BB0_70 Depth=2
	s_or_b64 exec, exec, s[50:51]
	;;#ASMSTART
	s_wakeup
	;;#ASMEND
.LBB0_529:                              ;   in Loop: Header=BB0_70 Depth=2
	s_or_b64 exec, exec, s[48:49]
.LBB0_530:                              ;   in Loop: Header=BB0_70 Depth=2
	s_andn2_saveexec_b64 vcc, s[46:47]
	s_cbranch_execz .LBB0_532
; %bb.531:                              ;   in Loop: Header=BB0_70 Depth=2
	s_waitcnt vmcnt(0) lgkmcnt(0)
	buffer_wbinvl1_vol
	s_barrier
.LBB0_532:                              ;   in Loop: Header=BB0_70 Depth=2
	s_or_b64 exec, exec, vcc
	s_or_b64 exec, exec, s[20:21]
	s_and_saveexec_b64 s[20:21], s[16:17]
	s_cbranch_execnz .LBB0_75
	s_branch .LBB0_76
.LBB0_533:                              ;   in Loop: Header=BB0_21 Depth=1
	v_accvgpr_write_b32 a46, v1
	v_accvgpr_write_b32 a45, v2
	v_pk_mov_b32 v[16:17], v[28:29], v[28:29] op_sel:[0,1]
	s_branch .LBB0_535
.LBB0_534:                              ;   in Loop: Header=BB0_21 Depth=1
	v_pk_mov_b32 v[16:17], v[28:29], v[28:29] op_sel:[0,1]
	v_accvgpr_read_b32 v31, a38
.LBB0_535:                              ;   in Loop: Header=BB0_21 Depth=1
	v_accvgpr_read_b32 v1, a45
	v_accvgpr_read_b32 v4, a46
; %bb.536:                              ;   in Loop: Header=BB0_21 Depth=1
	s_and_saveexec_b64 s[20:21], s[18:19]
	s_cbranch_execz .LBB0_958
; %bb.537:                              ;   in Loop: Header=BB0_21 Depth=1
	flat_load_dword v8, v[60:61]
	s_waitcnt vmcnt(0) lgkmcnt(0)
	v_accvgpr_read_b32 v2, a12
	v_accvgpr_read_b32 v3, a13
	v_add_co_u32_e32 v2, vcc, v2, v1
	v_addc_co_u32_e32 v3, vcc, v3, v4, vcc
	v_accvgpr_read_b32 v0, a34
	v_add_co_u32_e32 v0, vcc, v0, v1
	v_accvgpr_read_b32 v1, a35
	v_addc_co_u32_e32 v1, vcc, v1, v4, vcc
	v_and_b32_e32 v4, 7, v34
	v_mul_lo_u32 v4, v4, s62
	v_ashrrev_i32_e32 v5, 31, v4
	v_lshlrev_b64 v[4:5], 4, v[4:5]
	v_accvgpr_read_b32 v18, a18
	v_accvgpr_read_b32 v19, a19
	v_add_co_u32_e32 v44, vcc, v18, v4
	v_addc_co_u32_e32 v45, vcc, v19, v5, vcc
	v_accvgpr_read_b32 v5, a26
	v_accvgpr_read_b32 v9, a3
	v_add_u32_e32 v31, 1, v34
	s_mov_b64 s[46:47], 0
	v_accvgpr_read_b32 v26, a2
	v_ashrrev_i32_e32 v4, 31, v8
	v_mul_lo_u32 v5, v5, v8
	v_mad_u64_u32 v[2:3], s[18:19], v9, v8, v[2:3]
	v_mul_lo_u32 v4, v9, v4
	v_add3_u32 v3, v5, v3, v4
	v_accvgpr_read_b32 v4, a32
	v_add_co_u32_e32 v18, vcc, v2, v4
	v_accvgpr_read_b32 v5, a27
	v_addc_co_u32_e32 v19, vcc, v3, v5, vcc
	s_branch .LBB0_539
.LBB0_538:                              ;   in Loop: Header=BB0_539 Depth=2
	v_add_co_u32_e32 v18, vcc, v18, v56
	v_addc_co_u32_e32 v19, vcc, v19, v57, vcc
	v_add_co_u32_e32 v0, vcc, v0, v56
	v_addc_co_u32_e32 v1, vcc, v1, v57, vcc
	v_sub_u32_e32 v62, v62, v56
	v_cmp_gt_i32_e32 vcc, 1, v62
	s_or_b64 s[46:47], vcc, s[46:47]
	v_add_u32_e32 v26, v26, v20
	s_andn2_b64 exec, exec, s[46:47]
	s_cbranch_execz .LBB0_957
.LBB0_539:                              ;   Parent Loop BB0_21 Depth=1
                                        ; =>  This Loop Header: Depth=2
                                        ;       Child Loop BB0_547 Depth 3
	v_and_b32_e32 v2, -4, v18
	v_mov_b32_e32 v3, v19
	global_load_dword v8, v[2:3], off glc slc
	v_min_u32_e32 v4, 8, v62
	v_and_b32_e32 v5, 3, v18
	v_add_co_u32_e32 v4, vcc, v5, v4
	v_addc_co_u32_e64 v5, s[18:19], 0, 0, vcc
	v_mov_b32_e32 v32, 0
	v_cmp_lt_u64_e32 vcc, 4, v[4:5]
	v_mov_b32_e32 v33, 0
	s_and_saveexec_b64 s[18:19], vcc
	s_cbranch_execz .LBB0_541
; %bb.540:                              ;   in Loop: Header=BB0_539 Depth=2
	global_load_dword v33, v[2:3], off offset:4 glc slc
.LBB0_541:                              ;   in Loop: Header=BB0_539 Depth=2
	s_or_b64 exec, exec, s[18:19]
	v_cmp_lt_u64_e32 vcc, 8, v[4:5]
	s_and_saveexec_b64 s[18:19], vcc
	s_cbranch_execz .LBB0_543
; %bb.542:                              ;   in Loop: Header=BB0_539 Depth=2
	global_load_dword v32, v[2:3], off offset:8 glc slc
.LBB0_543:                              ;   in Loop: Header=BB0_539 Depth=2
	s_or_b64 exec, exec, s[18:19]
	v_ashrrev_i32_e32 v27, 31, v26
	v_lshlrev_b64 v[2:3], 4, v[26:27]
	v_add_co_u32_e32 v28, vcc, v44, v2
	v_addc_co_u32_e32 v29, vcc, v45, v3, vcc
	global_load_dwordx4 v[2:5], v[28:29], off glc slc
	v_cmp_eq_u32_e32 vcc, 0, v49
	s_and_saveexec_b64 s[48:49], vcc
	s_cbranch_execz .LBB0_555
; %bb.544:                              ;   in Loop: Header=BB0_539 Depth=2
	s_waitcnt vmcnt(0)
	v_cmp_ne_u32_e32 vcc, v31, v3
	v_cmp_ne_u32_e64 s[18:19], v31, v5
	s_or_b64 s[18:19], vcc, s[18:19]
	v_mov_b32_e32 v49, 0
	s_and_saveexec_b64 s[50:51], s[18:19]
	s_cbranch_execz .LBB0_554
; %bb.545:                              ;   in Loop: Header=BB0_539 Depth=2
	s_mov_b32 s56, 1
	s_mov_b64 s[52:53], 0
	v_mov_b32_e32 v49, 0
	s_branch .LBB0_547
.LBB0_546:                              ;   in Loop: Header=BB0_547 Depth=3
	s_or_b64 exec, exec, s[54:55]
	s_and_b64 s[18:19], exec, s[18:19]
	s_or_b64 s[52:53], s[18:19], s[52:53]
	s_andn2_b64 exec, exec, s[52:53]
	s_cbranch_execz .LBB0_553
.LBB0_547:                              ;   Parent Loop BB0_21 Depth=1
                                        ;     Parent Loop BB0_539 Depth=2
                                        ; =>    This Inner Loop Header: Depth=3
	global_load_dwordx4 v[2:5], v[28:29], off glc slc
	s_add_i32 s56, s56, 1
	s_cmpk_lg_i32 s56, 0x2710
	s_cbranch_scc1 .LBB0_551
; %bb.548:                              ;   in Loop: Header=BB0_547 Depth=3
	s_trap 2
	ds_read_b64 v[22:23], v0
	s_waitcnt vmcnt(0) lgkmcnt(0)
	flat_load_dword v9, v[22:23] glc
	s_waitcnt vmcnt(0) lgkmcnt(0)
	buffer_invl2
	buffer_wbinvl1_vol
	v_cmp_ne_u32_e32 vcc, 0, v9
	s_and_saveexec_b64 s[18:19], vcc
	s_cbranch_execz .LBB0_550
; %bb.549:                              ;   in Loop: Header=BB0_547 Depth=3
	v_mov_b32_e32 v49, 1
	ds_write_b32 v0, v9
	s_trap 2
.LBB0_550:                              ;   in Loop: Header=BB0_547 Depth=3
	s_or_b64 exec, exec, s[18:19]
	s_mov_b32 s56, 0
	v_mov_b32_e32 v9, v49
	v_cmp_eq_u32_e32 vcc, 0, v9
	s_mov_b64 s[18:19], -1
	s_and_saveexec_b64 s[54:55], vcc
	s_cbranch_execz .LBB0_546
	s_branch .LBB0_552
.LBB0_551:                              ;   in Loop: Header=BB0_547 Depth=3
	v_mov_b32_e32 v9, 0
	v_cmp_eq_u32_e32 vcc, 0, v9
	s_mov_b64 s[18:19], -1
	s_and_saveexec_b64 s[54:55], vcc
	s_cbranch_execz .LBB0_546
.LBB0_552:                              ;   in Loop: Header=BB0_547 Depth=3
	s_waitcnt vmcnt(0)
	v_cmp_eq_u32_e32 vcc, v31, v3
	v_cmp_eq_u32_e64 s[18:19], v31, v5
	s_and_b64 s[18:19], vcc, s[18:19]
	s_orn2_b64 s[18:19], s[18:19], exec
	s_branch .LBB0_546
.LBB0_553:                              ;   in Loop: Header=BB0_539 Depth=2
	s_or_b64 exec, exec, s[52:53]
.LBB0_554:                              ;   in Loop: Header=BB0_539 Depth=2
	s_or_b64 exec, exec, s[50:51]
.LBB0_555:                              ;   in Loop: Header=BB0_539 Depth=2
	s_or_b64 exec, exec, s[48:49]
	v_lshlrev_b32_e32 v22, 3, v18
	s_waitcnt vmcnt(0)
	v_alignbit_b32 v54, v33, v8, v22
	s_waitcnt vmcnt(0)
	v_cmp_ne_u16_sdwa s[18:19], v2, v55 src0_sel:BYTE_0 src1_sel:DWORD
                                        ; implicit-def: $vgpr9
	s_and_saveexec_b64 vcc, s[14:15]
	s_xor_b64 s[48:49], exec, vcc
	s_cbranch_execz .LBB0_573
; %bb.556:                              ;   in Loop: Header=BB0_539 Depth=2
	v_mov_b32_e32 v9, 0
	v_mov_b32_e32 v8, 0
	s_and_saveexec_b64 s[50:51], s[18:19]
	s_cbranch_execz .LBB0_564
; %bb.557:                              ;   in Loop: Header=BB0_539 Depth=2
	v_cmp_ne_u16_sdwa vcc, sext(v2), s65 src0_sel:BYTE_0 src1_sel:DWORD
	v_bfrev_b32_e32 v8, 1
	s_and_saveexec_b64 s[52:53], vcc
	s_cbranch_execz .LBB0_563
; %bb.558:                              ;   in Loop: Header=BB0_539 Depth=2
	v_and_b32_e32 v8, 0x7c, v2
	v_and_b32_e32 v21, 3, v2
	v_cmp_ne_u32_e32 vcc, s66, v8
                                        ; implicit-def: $vgpr8
	s_and_saveexec_b64 s[54:55], vcc
	s_xor_b64 s[54:55], exec, s[54:55]
	s_cbranch_execz .LBB0_560
; %bb.559:                              ;   in Loop: Header=BB0_539 Depth=2
	v_ffbh_u32_e32 v23, v21
	v_bfe_u32 v8, v2, 2, 5
	v_min_u32_e32 v23, 32, v23
	v_subrev_u32_e32 v24, 29, v23
	v_sub_u32_e32 v23, 30, v23
	v_cmp_eq_u32_e32 vcc, 0, v8
	v_lshlrev_b64 v[24:25], v24, v[2:3]
	v_cndmask_b32_e32 v8, v8, v23, vcc
	v_and_b32_e32 v24, 3, v24
	v_lshlrev_b32_e32 v23, 24, v2
	v_lshl_add_u32 v8, v8, 23, v47
	v_cndmask_b32_e32 v21, v21, v24, vcc
	v_and_or_b32 v8, v23, s67, v8
	v_lshl_or_b32 v8, v21, 21, v8
                                        ; implicit-def: $vgpr21
.LBB0_560:                              ;   in Loop: Header=BB0_539 Depth=2
	s_andn2_saveexec_b64 s[54:55], s[54:55]
; %bb.561:                              ;   in Loop: Header=BB0_539 Depth=2
	v_cmp_gt_i16_sdwa vcc, sext(v2), v6 src0_sel:BYTE_0 src1_sel:DWORD
	v_cndmask_b32_e32 v8, v7, v10, vcc
	v_cmp_eq_u32_e32 vcc, 0, v21
	v_cndmask_b32_e32 v8, v11, v8, vcc
; %bb.562:                              ;   in Loop: Header=BB0_539 Depth=2
	s_or_b64 exec, exec, s[54:55]
.LBB0_563:                              ;   in Loop: Header=BB0_539 Depth=2
	s_or_b64 exec, exec, s[52:53]
.LBB0_564:                              ;   in Loop: Header=BB0_539 Depth=2
	s_or_b64 exec, exec, s[50:51]
	v_cmp_ne_u16_sdwa vcc, sext(v54), v55 src0_sel:BYTE_0 src1_sel:DWORD
	s_and_saveexec_b64 s[50:51], vcc
	s_cbranch_execz .LBB0_572
; %bb.565:                              ;   in Loop: Header=BB0_539 Depth=2
	v_cmp_ne_u16_sdwa vcc, sext(v54), s65 src0_sel:BYTE_0 src1_sel:DWORD
	v_bfrev_b32_e32 v9, 1
	s_and_saveexec_b64 s[52:53], vcc
	s_cbranch_execz .LBB0_571
; %bb.566:                              ;   in Loop: Header=BB0_539 Depth=2
	v_and_b32_e32 v9, 0x7c, v54
	v_and_b32_e32 v21, 3, v54
	v_cmp_ne_u32_e32 vcc, s66, v9
                                        ; implicit-def: $vgpr9
	s_and_saveexec_b64 s[54:55], vcc
	s_xor_b64 s[54:55], exec, s[54:55]
	s_cbranch_execz .LBB0_568
; %bb.567:                              ;   in Loop: Header=BB0_539 Depth=2
	v_ffbh_u32_e32 v23, v21
	v_bfe_u32 v9, v54, 2, 5
	v_min_u32_e32 v23, 32, v23
	v_subrev_u32_e32 v24, 29, v23
	v_sub_u32_e32 v23, 30, v23
	v_cmp_eq_u32_e32 vcc, 0, v9
	v_lshlrev_b64 v[24:25], v24, v[54:55]
	v_cndmask_b32_e32 v9, v9, v23, vcc
	v_and_b32_e32 v24, 3, v24
	v_lshlrev_b32_e32 v23, 24, v54
	v_lshl_add_u32 v9, v9, 23, v47
	v_cndmask_b32_e32 v21, v21, v24, vcc
	v_and_or_b32 v9, v23, s67, v9
	v_lshl_or_b32 v9, v21, 21, v9
                                        ; implicit-def: $vgpr21
.LBB0_568:                              ;   in Loop: Header=BB0_539 Depth=2
	s_andn2_saveexec_b64 s[54:55], s[54:55]
; %bb.569:                              ;   in Loop: Header=BB0_539 Depth=2
	v_cmp_gt_i16_sdwa vcc, sext(v54), v6 src0_sel:BYTE_0 src1_sel:DWORD
	v_cndmask_b32_e32 v9, v7, v10, vcc
	v_cmp_eq_u32_e32 vcc, 0, v21
	v_cndmask_b32_e32 v9, v11, v9, vcc
; %bb.570:                              ;   in Loop: Header=BB0_539 Depth=2
	s_or_b64 exec, exec, s[54:55]
.LBB0_571:                              ;   in Loop: Header=BB0_539 Depth=2
	s_or_b64 exec, exec, s[52:53]
.LBB0_572:                              ;   in Loop: Header=BB0_539 Depth=2
	s_or_b64 exec, exec, s[50:51]
	v_max_f32_e32 v9, v9, v9
	v_max_f32_e32 v8, v8, v8
	;; [unrolled: 1-line block ×3, first 2 shown]
.LBB0_573:                              ;   in Loop: Header=BB0_539 Depth=2
	s_andn2_saveexec_b64 s[48:49], s[48:49]
	s_cbranch_execz .LBB0_591
; %bb.574:                              ;   in Loop: Header=BB0_539 Depth=2
	v_mov_b32_e32 v9, 0
	v_mov_b32_e32 v8, 0
	s_and_saveexec_b64 s[50:51], s[18:19]
	s_cbranch_execz .LBB0_582
; %bb.575:                              ;   in Loop: Header=BB0_539 Depth=2
	v_cmp_ne_u16_sdwa vcc, sext(v2), s65 src0_sel:BYTE_0 src1_sel:DWORD
	v_bfrev_b32_e32 v8, 1
	s_and_saveexec_b64 s[18:19], vcc
	s_cbranch_execz .LBB0_581
; %bb.576:                              ;   in Loop: Header=BB0_539 Depth=2
	v_and_b32_e32 v8, 0x7c, v2
	v_and_b32_e32 v21, 3, v2
	v_cmp_ne_u32_e32 vcc, s66, v8
                                        ; implicit-def: $vgpr8
	s_and_saveexec_b64 s[52:53], vcc
	s_xor_b64 s[52:53], exec, s[52:53]
	s_cbranch_execz .LBB0_578
; %bb.577:                              ;   in Loop: Header=BB0_539 Depth=2
	v_ffbh_u32_e32 v23, v21
	v_min_u32_e32 v23, 32, v23
	v_bfe_u32 v8, v2, 2, 5
	v_subrev_u32_e32 v24, 29, v23
	v_lshlrev_b64 v[24:25], v24, v[2:3]
	v_sub_u32_e32 v3, 30, v23
	v_cmp_eq_u32_e32 vcc, 0, v8
	v_and_b32_e32 v23, 3, v24
	v_cndmask_b32_e32 v3, v8, v3, vcc
	v_cndmask_b32_e32 v8, v21, v23, vcc
	v_lshlrev_b32_e32 v21, 24, v2
	v_lshl_add_u32 v3, v3, 23, v47
	v_and_or_b32 v3, v21, s67, v3
	v_lshl_or_b32 v8, v8, 21, v3
                                        ; implicit-def: $vgpr21
.LBB0_578:                              ;   in Loop: Header=BB0_539 Depth=2
	s_andn2_saveexec_b64 s[52:53], s[52:53]
; %bb.579:                              ;   in Loop: Header=BB0_539 Depth=2
	v_cmp_gt_i16_sdwa vcc, sext(v2), v6 src0_sel:BYTE_0 src1_sel:DWORD
	v_cndmask_b32_e32 v3, v7, v10, vcc
	v_cmp_eq_u32_e32 vcc, 0, v21
	v_cndmask_b32_e32 v8, v11, v3, vcc
; %bb.580:                              ;   in Loop: Header=BB0_539 Depth=2
	s_or_b64 exec, exec, s[52:53]
.LBB0_581:                              ;   in Loop: Header=BB0_539 Depth=2
	s_or_b64 exec, exec, s[18:19]
.LBB0_582:                              ;   in Loop: Header=BB0_539 Depth=2
	s_or_b64 exec, exec, s[50:51]
	v_cmp_ne_u16_sdwa vcc, sext(v54), v55 src0_sel:BYTE_0 src1_sel:DWORD
	s_and_saveexec_b64 s[18:19], vcc
	s_cbranch_execz .LBB0_590
; %bb.583:                              ;   in Loop: Header=BB0_539 Depth=2
	v_cmp_ne_u16_sdwa vcc, sext(v54), s65 src0_sel:BYTE_0 src1_sel:DWORD
	v_bfrev_b32_e32 v9, 1
	s_and_saveexec_b64 s[50:51], vcc
	s_cbranch_execz .LBB0_589
; %bb.584:                              ;   in Loop: Header=BB0_539 Depth=2
	v_and_b32_e32 v9, 0x7c, v54
	v_and_b32_e32 v3, 3, v54
	v_cmp_ne_u32_e32 vcc, s66, v9
                                        ; implicit-def: $vgpr9
	s_and_saveexec_b64 s[52:53], vcc
	s_xor_b64 s[52:53], exec, s[52:53]
	s_cbranch_execz .LBB0_586
; %bb.585:                              ;   in Loop: Header=BB0_539 Depth=2
	v_ffbh_u32_e32 v21, v3
	v_bfe_u32 v9, v54, 2, 5
	v_min_u32_e32 v21, 32, v21
	v_subrev_u32_e32 v23, 29, v21
	v_sub_u32_e32 v21, 30, v21
	v_cmp_eq_u32_e32 vcc, 0, v9
	v_lshlrev_b64 v[24:25], v23, v[54:55]
	v_cndmask_b32_e32 v9, v9, v21, vcc
	v_and_b32_e32 v23, 3, v24
	v_lshlrev_b32_e32 v21, 24, v54
	v_lshl_add_u32 v9, v9, 23, v47
	v_cndmask_b32_e32 v3, v3, v23, vcc
	v_and_or_b32 v9, v21, s67, v9
	v_lshl_or_b32 v9, v3, 21, v9
                                        ; implicit-def: $vgpr3
.LBB0_586:                              ;   in Loop: Header=BB0_539 Depth=2
	s_andn2_saveexec_b64 s[52:53], s[52:53]
; %bb.587:                              ;   in Loop: Header=BB0_539 Depth=2
	v_cmp_gt_i16_sdwa vcc, sext(v54), v6 src0_sel:BYTE_0 src1_sel:DWORD
	v_cndmask_b32_e32 v9, v7, v10, vcc
	v_cmp_eq_u32_e32 vcc, 0, v3
	v_cndmask_b32_e32 v9, v11, v9, vcc
; %bb.588:                              ;   in Loop: Header=BB0_539 Depth=2
	s_or_b64 exec, exec, s[52:53]
.LBB0_589:                              ;   in Loop: Header=BB0_539 Depth=2
	s_or_b64 exec, exec, s[50:51]
.LBB0_590:                              ;   in Loop: Header=BB0_539 Depth=2
	s_or_b64 exec, exec, s[18:19]
	v_max_f32_e32 v3, v9, v9
	v_max_f32_e32 v8, v8, v8
	v_min_f32_e32 v9, v8, v3
.LBB0_591:                              ;   in Loop: Header=BB0_539 Depth=2
	s_or_b64 exec, exec, s[48:49]
	v_and_b32_sdwa v3, v9, s68 dst_sel:DWORD dst_unused:UNUSED_PAD src0_sel:BYTE_3 src1_sel:DWORD
	v_and_b32_e32 v28, 0x7f800000, v9
	v_mov_b32_e32 v29, v55
	v_and_b32_e32 v24, 0x7fffff, v9
	v_mov_b32_e32 v25, v55
	v_or_b32_e32 v8, 0x7b, v3
	v_cmp_ne_u64_e32 vcc, s[40:41], v[28:29]
	s_and_saveexec_b64 s[18:19], vcc
	s_xor_b64 s[48:49], exec, s[18:19]
	s_cbranch_execz .LBB0_601
; %bb.592:                              ;   in Loop: Header=BB0_539 Depth=2
	v_and_b32_e32 v28, 0x7fffffff, v9
	v_mov_b32_e32 v29, v55
	v_cmp_gt_u64_e32 vcc, s[42:43], v[28:29]
	s_and_saveexec_b64 s[50:51], vcc
	s_cbranch_execz .LBB0_600
; %bb.593:                              ;   in Loop: Header=BB0_539 Depth=2
	v_cmp_ne_u32_e32 vcc, 0, v9
	v_mov_b32_e32 v8, 0
	s_and_saveexec_b64 s[52:53], vcc
	s_cbranch_execz .LBB0_599
; %bb.594:                              ;   in Loop: Header=BB0_539 Depth=2
	v_bfe_u32 v8, v9, 23, 8
	v_sub_u32_e32 v21, 0x71, v8
	v_cmp_gt_u32_e32 vcc, s69, v8
	v_cndmask_b32_e32 v21, 0, v21, vcc
	v_cmp_eq_u32_e32 vcc, 0, v8
	v_cndmask_b32_e32 v21, v21, v48, vcc
	v_add_u32_e32 v9, 0xffffff81, v8
	v_add_u32_e32 v8, 21, v21
	v_or_b32_e32 v23, 0x800000, v24
	v_cndmask_b32_e32 v27, v9, v30, vcc
	v_lshlrev_b64 v[8:9], v8, -1
	v_cndmask_b32_e32 v24, v23, v24, vcc
	v_not_b32_e32 v8, v8
	v_and_b32_e32 v28, v24, v8
	v_add_u32_e32 v8, 20, v21
	v_lshrrev_b64 v[24:25], v21, v[24:25]
	v_not_b32_e32 v9, v9
	v_lshlrev_b64 v[36:37], v8, 1
	v_lshrrev_b32_e32 v8, 23, v24
	v_and_b32_e32 v29, 0, v9
	v_add3_u32 v21, v21, v27, v8
	v_bfe_u32 v8, v24, 21, 1
	v_add_u32_e32 v8, -1, v8
	v_cmp_eq_u64_e32 vcc, v[28:29], v[36:37]
	v_cndmask_b32_e32 v8, 0, v8, vcc
	v_add_u32_e32 v8, v8, v24
	v_and_b32_e32 v8, 0x1fffff, v8
	v_add_co_u32_e32 v24, vcc, v8, v24
	v_add_u32_e32 v9, 14, v21
	v_addc_co_u32_e32 v25, vcc, 0, v25, vcc
	v_cmp_ne_u32_e32 vcc, 0, v9
                                        ; implicit-def: $vgpr8
	s_and_saveexec_b64 s[18:19], vcc
	s_xor_b64 s[18:19], exec, s[18:19]
; %bb.595:                              ;   in Loop: Header=BB0_539 Depth=2
	v_add_u32_e32 v8, 15, v21
	v_cmp_lt_u64_e32 vcc, s[44:45], v[24:25]
	v_cndmask_b32_e32 v8, v9, v8, vcc
	v_cndmask_b32_e64 v9, 0, 1, vcc
	v_lshrrev_b64 v[24:25], v9, v[24:25]
; %bb.596:                              ;   in Loop: Header=BB0_539 Depth=2
	s_andn2_saveexec_b64 s[18:19], s[18:19]
; %bb.597:                              ;   in Loop: Header=BB0_539 Depth=2
	v_bfe_u32 v8, v24, 23, 1
; %bb.598:                              ;   in Loop: Header=BB0_539 Depth=2
	s_or_b64 exec, exec, s[18:19]
	v_lshrrev_b64 v[24:25], 21, v[24:25]
	v_cmp_gt_i32_e32 vcc, 32, v8
	v_cndmask_b32_e32 v25, 0, v25, vcc
	v_cndmask_b32_e32 v24, 3, v24, vcc
	v_cmp_eq_u32_e32 vcc, 0, v8
	v_min_i32_e32 v8, 31, v8
	v_cmp_eq_u64_e64 s[18:19], 0, v[24:25]
	v_lshlrev_b32_e32 v8, 2, v8
	v_and_or_b32 v8, v24, 3, v8
	s_and_b64 s[18:19], vcc, s[18:19]
	v_cndmask_b32_e64 v8, v8, 0, s[18:19]
	v_or_b32_e32 v8, v8, v3
.LBB0_599:                              ;   in Loop: Header=BB0_539 Depth=2
	s_or_b64 exec, exec, s[52:53]
.LBB0_600:                              ;   in Loop: Header=BB0_539 Depth=2
	s_or_b64 exec, exec, s[50:51]
                                        ; implicit-def: $vgpr9
                                        ; implicit-def: $vgpr24_vgpr25
.LBB0_601:                              ;   in Loop: Header=BB0_539 Depth=2
	s_andn2_saveexec_b64 s[18:19], s[48:49]
; %bb.602:                              ;   in Loop: Header=BB0_539 Depth=2
	v_or_b32_sdwa v3, v9, s70 dst_sel:DWORD dst_unused:UNUSED_PAD src0_sel:BYTE_3 src1_sel:DWORD
	v_cmp_eq_u64_e32 vcc, 0, v[24:25]
	v_cndmask_b32_e32 v8, v3, v8, vcc
; %bb.603:                              ;   in Loop: Header=BB0_539 Depth=2
	s_or_b64 exec, exec, s[18:19]
	v_lshrrev_b16_e32 v24, 8, v2
	v_lshrrev_b16_e32 v28, 8, v54
	v_cmp_ne_u16_e32 vcc, 0, v24
                                        ; implicit-def: $vgpr21
	s_and_saveexec_b64 s[18:19], s[14:15]
	s_xor_b64 s[48:49], exec, s[18:19]
	s_cbranch_execz .LBB0_621
; %bb.604:                              ;   in Loop: Header=BB0_539 Depth=2
	v_mov_b32_e32 v9, 0
	v_mov_b32_e32 v3, 0
	s_and_saveexec_b64 s[50:51], vcc
	s_cbranch_execz .LBB0_612
; %bb.605:                              ;   in Loop: Header=BB0_539 Depth=2
	v_cmp_ne_u16_e64 s[18:19], s68, v24
	v_bfrev_b32_e32 v3, 1
	s_and_saveexec_b64 s[52:53], s[18:19]
	s_cbranch_execz .LBB0_611
; %bb.606:                              ;   in Loop: Header=BB0_539 Depth=2
	v_and_b32_e32 v3, 0x7c, v24
	v_and_b32_e32 v21, 3, v24
	v_cmp_ne_u32_e64 s[18:19], s66, v3
                                        ; implicit-def: $vgpr3
	s_and_saveexec_b64 s[54:55], s[18:19]
	s_xor_b64 s[54:55], exec, s[54:55]
	s_cbranch_execz .LBB0_608
; %bb.607:                              ;   in Loop: Header=BB0_539 Depth=2
	v_ffbh_u32_e32 v23, v21
	v_bfe_u32 v3, v24, 2, 5
	v_min_u32_e32 v23, 32, v23
	v_mov_b32_e32 v25, v55
	v_subrev_u32_e32 v27, 29, v23
	v_sub_u32_e32 v23, 30, v23
	v_cmp_eq_u32_e64 s[18:19], 0, v3
	v_lshlrev_b64 v[24:25], v27, v[24:25]
	v_cndmask_b32_e64 v3, v3, v23, s[18:19]
	v_and_b32_e32 v24, 3, v24
	v_lshlrev_b32_e32 v23, 16, v2
	v_lshl_add_u32 v3, v3, 23, v47
	v_cndmask_b32_e64 v21, v21, v24, s[18:19]
	v_and_or_b32 v3, v23, s67, v3
	v_lshl_or_b32 v3, v21, 21, v3
                                        ; implicit-def: $vgpr21
.LBB0_608:                              ;   in Loop: Header=BB0_539 Depth=2
	s_andn2_saveexec_b64 s[54:55], s[54:55]
; %bb.609:                              ;   in Loop: Header=BB0_539 Depth=2
	v_cmp_lt_i16_e64 s[18:19], -1, v2
	v_cndmask_b32_e64 v3, v7, v10, s[18:19]
	v_cmp_eq_u32_e64 s[18:19], 0, v21
	v_cndmask_b32_e64 v3, v11, v3, s[18:19]
; %bb.610:                              ;   in Loop: Header=BB0_539 Depth=2
	s_or_b64 exec, exec, s[54:55]
.LBB0_611:                              ;   in Loop: Header=BB0_539 Depth=2
	s_or_b64 exec, exec, s[52:53]
.LBB0_612:                              ;   in Loop: Header=BB0_539 Depth=2
	s_or_b64 exec, exec, s[50:51]
	v_cmp_ne_u16_e64 s[18:19], 0, v28
	s_and_saveexec_b64 s[50:51], s[18:19]
	s_cbranch_execz .LBB0_620
; %bb.613:                              ;   in Loop: Header=BB0_539 Depth=2
	v_cmp_ne_u16_e64 s[18:19], s68, v28
	v_bfrev_b32_e32 v9, 1
	s_and_saveexec_b64 s[52:53], s[18:19]
	s_cbranch_execz .LBB0_619
; %bb.614:                              ;   in Loop: Header=BB0_539 Depth=2
	v_and_b32_e32 v9, 0x7c, v28
	v_and_b32_e32 v21, 3, v28
	v_cmp_ne_u32_e64 s[18:19], s66, v9
                                        ; implicit-def: $vgpr9
	s_and_saveexec_b64 s[54:55], s[18:19]
	s_xor_b64 s[54:55], exec, s[54:55]
	s_cbranch_execz .LBB0_616
; %bb.615:                              ;   in Loop: Header=BB0_539 Depth=2
	v_ffbh_u32_e32 v23, v21
	v_bfe_u32 v9, v28, 2, 5
	v_min_u32_e32 v23, 32, v23
	v_mov_b32_e32 v29, v55
	v_subrev_u32_e32 v24, 29, v23
	v_sub_u32_e32 v23, 30, v23
	v_cmp_eq_u32_e64 s[18:19], 0, v9
	v_lshlrev_b64 v[24:25], v24, v[28:29]
	v_cndmask_b32_e64 v9, v9, v23, s[18:19]
	v_and_b32_e32 v24, 3, v24
	v_lshlrev_b32_e32 v23, 16, v54
	v_lshl_add_u32 v9, v9, 23, v47
	v_cndmask_b32_e64 v21, v21, v24, s[18:19]
	v_and_or_b32 v9, v23, s67, v9
	v_lshl_or_b32 v9, v21, 21, v9
                                        ; implicit-def: $vgpr21
.LBB0_616:                              ;   in Loop: Header=BB0_539 Depth=2
	s_andn2_saveexec_b64 s[54:55], s[54:55]
; %bb.617:                              ;   in Loop: Header=BB0_539 Depth=2
	v_cmp_lt_i16_e64 s[18:19], -1, v54
	v_cndmask_b32_e64 v9, v7, v10, s[18:19]
	v_cmp_eq_u32_e64 s[18:19], 0, v21
	v_cndmask_b32_e64 v9, v11, v9, s[18:19]
; %bb.618:                              ;   in Loop: Header=BB0_539 Depth=2
	s_or_b64 exec, exec, s[54:55]
.LBB0_619:                              ;   in Loop: Header=BB0_539 Depth=2
	s_or_b64 exec, exec, s[52:53]
.LBB0_620:                              ;   in Loop: Header=BB0_539 Depth=2
	s_or_b64 exec, exec, s[50:51]
	v_max_f32_e32 v9, v9, v9
	v_max_f32_e32 v3, v3, v3
	;; [unrolled: 1-line block ×3, first 2 shown]
                                        ; implicit-def: $vgpr28
                                        ; implicit-def: $vgpr24
.LBB0_621:                              ;   in Loop: Header=BB0_539 Depth=2
	s_andn2_saveexec_b64 s[18:19], s[48:49]
	s_cbranch_execz .LBB0_639
; %bb.622:                              ;   in Loop: Header=BB0_539 Depth=2
	v_mov_b32_e32 v9, 0
	v_mov_b32_e32 v3, 0
	s_and_saveexec_b64 s[48:49], vcc
	s_cbranch_execz .LBB0_630
; %bb.623:                              ;   in Loop: Header=BB0_539 Depth=2
	v_cmp_ne_u16_e32 vcc, s68, v24
	v_bfrev_b32_e32 v3, 1
	s_and_saveexec_b64 s[50:51], vcc
	s_cbranch_execz .LBB0_629
; %bb.624:                              ;   in Loop: Header=BB0_539 Depth=2
	v_and_b32_e32 v3, 0x7c, v24
	v_and_b32_e32 v21, 3, v24
	v_cmp_ne_u32_e32 vcc, s66, v3
                                        ; implicit-def: $vgpr3
	s_and_saveexec_b64 s[52:53], vcc
	s_xor_b64 s[52:53], exec, s[52:53]
	s_cbranch_execz .LBB0_626
; %bb.625:                              ;   in Loop: Header=BB0_539 Depth=2
	v_ffbh_u32_e32 v23, v21
	v_bfe_u32 v3, v24, 2, 5
	v_min_u32_e32 v23, 32, v23
	v_mov_b32_e32 v25, v55
	v_subrev_u32_e32 v27, 29, v23
	v_sub_u32_e32 v23, 30, v23
	v_cmp_eq_u32_e32 vcc, 0, v3
	v_lshlrev_b64 v[24:25], v27, v[24:25]
	v_cndmask_b32_e32 v3, v3, v23, vcc
	v_and_b32_e32 v24, 3, v24
	v_lshlrev_b32_e32 v23, 16, v2
	v_lshl_add_u32 v3, v3, 23, v47
	v_cndmask_b32_e32 v21, v21, v24, vcc
	v_and_or_b32 v3, v23, s67, v3
	v_lshl_or_b32 v3, v21, 21, v3
                                        ; implicit-def: $vgpr21
.LBB0_626:                              ;   in Loop: Header=BB0_539 Depth=2
	s_andn2_saveexec_b64 s[52:53], s[52:53]
; %bb.627:                              ;   in Loop: Header=BB0_539 Depth=2
	v_cmp_lt_i16_e32 vcc, -1, v2
	v_cndmask_b32_e32 v3, v7, v10, vcc
	v_cmp_eq_u32_e32 vcc, 0, v21
	v_cndmask_b32_e32 v3, v11, v3, vcc
; %bb.628:                              ;   in Loop: Header=BB0_539 Depth=2
	s_or_b64 exec, exec, s[52:53]
.LBB0_629:                              ;   in Loop: Header=BB0_539 Depth=2
	s_or_b64 exec, exec, s[50:51]
.LBB0_630:                              ;   in Loop: Header=BB0_539 Depth=2
	s_or_b64 exec, exec, s[48:49]
	v_cmp_ne_u16_e32 vcc, 0, v28
	s_and_saveexec_b64 s[48:49], vcc
	s_cbranch_execz .LBB0_638
; %bb.631:                              ;   in Loop: Header=BB0_539 Depth=2
	v_cmp_ne_u16_e32 vcc, s68, v28
	v_bfrev_b32_e32 v9, 1
	s_and_saveexec_b64 s[50:51], vcc
	s_cbranch_execz .LBB0_637
; %bb.632:                              ;   in Loop: Header=BB0_539 Depth=2
	v_and_b32_e32 v9, 0x7c, v28
	v_and_b32_e32 v21, 3, v28
	v_cmp_ne_u32_e32 vcc, s66, v9
                                        ; implicit-def: $vgpr9
	s_and_saveexec_b64 s[52:53], vcc
	s_xor_b64 s[52:53], exec, s[52:53]
	s_cbranch_execz .LBB0_634
; %bb.633:                              ;   in Loop: Header=BB0_539 Depth=2
	v_ffbh_u32_e32 v23, v21
	v_bfe_u32 v9, v28, 2, 5
	v_min_u32_e32 v23, 32, v23
	v_mov_b32_e32 v29, v55
	v_subrev_u32_e32 v24, 29, v23
	v_sub_u32_e32 v23, 30, v23
	v_cmp_eq_u32_e32 vcc, 0, v9
	v_lshlrev_b64 v[24:25], v24, v[28:29]
	v_cndmask_b32_e32 v9, v9, v23, vcc
	v_and_b32_e32 v24, 3, v24
	v_lshlrev_b32_e32 v23, 16, v54
	v_lshl_add_u32 v9, v9, 23, v47
	v_cndmask_b32_e32 v21, v21, v24, vcc
	v_and_or_b32 v9, v23, s67, v9
	v_lshl_or_b32 v9, v21, 21, v9
                                        ; implicit-def: $vgpr21
.LBB0_634:                              ;   in Loop: Header=BB0_539 Depth=2
	s_andn2_saveexec_b64 s[52:53], s[52:53]
; %bb.635:                              ;   in Loop: Header=BB0_539 Depth=2
	v_cmp_lt_i16_e32 vcc, -1, v54
	v_cndmask_b32_e32 v9, v7, v10, vcc
	v_cmp_eq_u32_e32 vcc, 0, v21
	v_cndmask_b32_e32 v9, v11, v9, vcc
; %bb.636:                              ;   in Loop: Header=BB0_539 Depth=2
	s_or_b64 exec, exec, s[52:53]
.LBB0_637:                              ;   in Loop: Header=BB0_539 Depth=2
	s_or_b64 exec, exec, s[50:51]
.LBB0_638:                              ;   in Loop: Header=BB0_539 Depth=2
	s_or_b64 exec, exec, s[48:49]
	v_max_f32_e32 v9, v9, v9
	v_max_f32_e32 v3, v3, v3
	v_min_f32_e32 v21, v3, v9
.LBB0_639:                              ;   in Loop: Header=BB0_539 Depth=2
	s_or_b64 exec, exec, s[18:19]
	v_and_b32_sdwa v3, v21, s68 dst_sel:DWORD dst_unused:UNUSED_PAD src0_sel:BYTE_3 src1_sel:DWORD
	v_and_b32_e32 v28, 0x7f800000, v21
	v_mov_b32_e32 v29, v55
	v_and_b32_e32 v24, 0x7fffff, v21
	v_mov_b32_e32 v25, v55
	v_or_b32_e32 v9, 0x7b, v3
	v_cmp_ne_u64_e32 vcc, s[40:41], v[28:29]
	s_and_saveexec_b64 s[18:19], vcc
	s_xor_b64 s[48:49], exec, s[18:19]
	s_cbranch_execz .LBB0_649
; %bb.640:                              ;   in Loop: Header=BB0_539 Depth=2
	v_and_b32_e32 v28, 0x7fffffff, v21
	v_mov_b32_e32 v29, v55
	v_cmp_gt_u64_e32 vcc, s[42:43], v[28:29]
	s_and_saveexec_b64 s[50:51], vcc
	s_cbranch_execz .LBB0_648
; %bb.641:                              ;   in Loop: Header=BB0_539 Depth=2
	v_cmp_ne_u32_e32 vcc, 0, v21
	v_mov_b32_e32 v9, 0
	s_and_saveexec_b64 s[52:53], vcc
	s_cbranch_execz .LBB0_647
; %bb.642:                              ;   in Loop: Header=BB0_539 Depth=2
	v_bfe_u32 v9, v21, 23, 8
	v_sub_u32_e32 v23, 0x71, v9
	v_cmp_gt_u32_e32 vcc, s69, v9
	v_add_u32_e32 v21, 0xffffff81, v9
	v_cndmask_b32_e32 v23, 0, v23, vcc
	v_cmp_eq_u32_e32 vcc, 0, v9
	v_cndmask_b32_e32 v9, v21, v30, vcc
	v_cndmask_b32_e32 v21, v23, v48, vcc
	v_add_u32_e32 v23, 21, v21
	v_or_b32_e32 v27, 0x800000, v24
	v_lshlrev_b64 v[28:29], v23, -1
	v_cndmask_b32_e32 v24, v27, v24, vcc
	v_not_b32_e32 v23, v29
	v_not_b32_e32 v27, v28
	v_and_b32_e32 v29, 0, v23
	v_and_b32_e32 v28, v24, v27
	v_add_u32_e32 v23, 20, v21
	v_lshrrev_b64 v[24:25], v21, v[24:25]
	v_lshlrev_b64 v[36:37], v23, 1
	v_lshrrev_b32_e32 v23, 23, v24
	v_add3_u32 v23, v21, v9, v23
	v_bfe_u32 v9, v24, 21, 1
	v_add_u32_e32 v9, -1, v9
	v_cmp_eq_u64_e32 vcc, v[28:29], v[36:37]
	v_cndmask_b32_e32 v9, 0, v9, vcc
	v_add_u32_e32 v9, v9, v24
	v_and_b32_e32 v9, 0x1fffff, v9
	v_add_co_u32_e32 v24, vcc, v9, v24
	v_add_u32_e32 v21, 14, v23
	v_addc_co_u32_e32 v25, vcc, 0, v25, vcc
	v_cmp_ne_u32_e32 vcc, 0, v21
                                        ; implicit-def: $vgpr9
	s_and_saveexec_b64 s[18:19], vcc
	s_xor_b64 s[18:19], exec, s[18:19]
; %bb.643:                              ;   in Loop: Header=BB0_539 Depth=2
	v_add_u32_e32 v9, 15, v23
	v_cmp_lt_u64_e32 vcc, s[44:45], v[24:25]
	v_cndmask_b32_e32 v9, v21, v9, vcc
	v_cndmask_b32_e64 v21, 0, 1, vcc
	v_lshrrev_b64 v[24:25], v21, v[24:25]
; %bb.644:                              ;   in Loop: Header=BB0_539 Depth=2
	s_andn2_saveexec_b64 s[18:19], s[18:19]
; %bb.645:                              ;   in Loop: Header=BB0_539 Depth=2
	v_bfe_u32 v9, v24, 23, 1
; %bb.646:                              ;   in Loop: Header=BB0_539 Depth=2
	s_or_b64 exec, exec, s[18:19]
	v_lshrrev_b64 v[24:25], 21, v[24:25]
	v_cmp_gt_i32_e32 vcc, 32, v9
	v_cndmask_b32_e32 v25, 0, v25, vcc
	v_cndmask_b32_e32 v24, 3, v24, vcc
	v_cmp_eq_u32_e32 vcc, 0, v9
	v_min_i32_e32 v9, 31, v9
	v_cmp_eq_u64_e64 s[18:19], 0, v[24:25]
	v_lshlrev_b32_e32 v9, 2, v9
	v_and_or_b32 v9, v24, 3, v9
	s_and_b64 s[18:19], vcc, s[18:19]
	v_cndmask_b32_e64 v9, v9, 0, s[18:19]
	v_or_b32_e32 v9, v9, v3
.LBB0_647:                              ;   in Loop: Header=BB0_539 Depth=2
	s_or_b64 exec, exec, s[52:53]
.LBB0_648:                              ;   in Loop: Header=BB0_539 Depth=2
	s_or_b64 exec, exec, s[50:51]
                                        ; implicit-def: $vgpr21
                                        ; implicit-def: $vgpr24_vgpr25
.LBB0_649:                              ;   in Loop: Header=BB0_539 Depth=2
	s_andn2_saveexec_b64 s[18:19], s[48:49]
; %bb.650:                              ;   in Loop: Header=BB0_539 Depth=2
	v_or_b32_sdwa v3, v21, s70 dst_sel:DWORD dst_unused:UNUSED_PAD src0_sel:BYTE_3 src1_sel:DWORD
	v_cmp_eq_u64_e32 vcc, 0, v[24:25]
	v_cndmask_b32_e32 v9, v3, v9, vcc
; %bb.651:                              ;   in Loop: Header=BB0_539 Depth=2
	s_or_b64 exec, exec, s[18:19]
	v_lshrrev_b32_e32 v40, 16, v2
	v_lshrrev_b32_e32 v28, 16, v54
	v_cmp_ne_u16_sdwa s[18:19], v40, v55 src0_sel:BYTE_0 src1_sel:DWORD
                                        ; implicit-def: $vgpr23
	s_and_saveexec_b64 vcc, s[14:15]
	s_xor_b64 s[48:49], exec, vcc
	s_cbranch_execz .LBB0_669
; %bb.652:                              ;   in Loop: Header=BB0_539 Depth=2
	v_mov_b32_e32 v21, 0
	v_mov_b32_e32 v3, 0
	s_and_saveexec_b64 s[50:51], s[18:19]
	s_cbranch_execz .LBB0_660
; %bb.653:                              ;   in Loop: Header=BB0_539 Depth=2
	v_cmp_ne_u16_sdwa vcc, v40, s68 src0_sel:BYTE_0 src1_sel:DWORD
	v_bfrev_b32_e32 v3, 1
	s_and_saveexec_b64 s[52:53], vcc
	s_cbranch_execz .LBB0_659
; %bb.654:                              ;   in Loop: Header=BB0_539 Depth=2
	v_and_b32_e32 v3, 0x7c0000, v2
	v_bfe_u32 v23, v2, 16, 2
	v_cmp_ne_u32_e32 vcc, s71, v3
                                        ; implicit-def: $vgpr3
	s_and_saveexec_b64 s[54:55], vcc
	s_xor_b64 s[54:55], exec, s[54:55]
	s_cbranch_execz .LBB0_656
; %bb.655:                              ;   in Loop: Header=BB0_539 Depth=2
	v_ffbh_u32_e32 v24, v23
	v_min_u32_e32 v27, 32, v24
	v_subrev_u32_e32 v24, 29, v27
	v_bfe_u32 v3, v2, 18, 5
	v_lshlrev_b64 v[24:25], v24, v[40:41]
	v_sub_u32_e32 v25, 30, v27
	v_cmp_eq_u32_e32 vcc, 0, v3
	v_and_b32_e32 v24, 3, v24
	v_cndmask_b32_e32 v3, v3, v25, vcc
	v_cndmask_b32_e32 v23, v23, v24, vcc
	v_lshlrev_b32_e32 v24, 24, v40
	v_lshl_add_u32 v3, v3, 23, v47
	v_and_or_b32 v3, v24, s67, v3
	v_lshl_or_b32 v3, v23, 21, v3
                                        ; implicit-def: $vgpr23
                                        ; implicit-def: $vgpr40
.LBB0_656:                              ;   in Loop: Header=BB0_539 Depth=2
	s_andn2_saveexec_b64 s[54:55], s[54:55]
; %bb.657:                              ;   in Loop: Header=BB0_539 Depth=2
	v_cmp_gt_i16_sdwa vcc, sext(v40), v6 src0_sel:BYTE_0 src1_sel:DWORD
	v_cndmask_b32_e32 v3, v7, v10, vcc
	v_cmp_eq_u32_e32 vcc, 0, v23
	v_cndmask_b32_e32 v3, v11, v3, vcc
; %bb.658:                              ;   in Loop: Header=BB0_539 Depth=2
	s_or_b64 exec, exec, s[54:55]
.LBB0_659:                              ;   in Loop: Header=BB0_539 Depth=2
	s_or_b64 exec, exec, s[52:53]
.LBB0_660:                              ;   in Loop: Header=BB0_539 Depth=2
	s_or_b64 exec, exec, s[50:51]
	v_and_b32_sdwa v24, v54, s64 dst_sel:DWORD dst_unused:UNUSED_PAD src0_sel:WORD_1 src1_sel:DWORD
	v_lshrrev_b32_e32 v23, 16, v54
	v_cmp_ne_u16_e32 vcc, 0, v24
	s_and_saveexec_b64 s[50:51], vcc
	s_cbranch_execz .LBB0_668
; %bb.661:                              ;   in Loop: Header=BB0_539 Depth=2
	v_cmp_ne_u16_e32 vcc, s68, v24
	v_bfrev_b32_e32 v21, 1
	s_and_saveexec_b64 s[52:53], vcc
	s_cbranch_execz .LBB0_667
; %bb.662:                              ;   in Loop: Header=BB0_539 Depth=2
	v_and_b32_e32 v21, 0x7c0000, v54
	v_bfe_u32 v24, v54, 16, 2
	v_cmp_ne_u32_e32 vcc, s71, v21
                                        ; implicit-def: $vgpr21
	s_and_saveexec_b64 s[54:55], vcc
	s_xor_b64 s[54:55], exec, s[54:55]
	s_cbranch_execz .LBB0_664
; %bb.663:                              ;   in Loop: Header=BB0_539 Depth=2
	v_ffbh_u32_e32 v23, v24
	v_min_u32_e32 v23, 32, v23
	v_bfe_u32 v21, v54, 18, 5
	v_subrev_u32_e32 v25, 29, v23
	v_lshlrev_b64 v[36:37], v25, v[28:29]
	v_sub_u32_e32 v23, 30, v23
	v_cmp_eq_u32_e32 vcc, 0, v21
	v_and_b32_e32 v25, 3, v36
	v_cndmask_b32_e32 v21, v21, v23, vcc
	v_cndmask_b32_e32 v23, v24, v25, vcc
	v_lshlrev_b32_e32 v24, 24, v28
	v_lshl_add_u32 v21, v21, 23, v47
	v_and_or_b32 v21, v24, s67, v21
	v_lshl_or_b32 v21, v23, 21, v21
                                        ; implicit-def: $vgpr24
                                        ; implicit-def: $vgpr23
.LBB0_664:                              ;   in Loop: Header=BB0_539 Depth=2
	s_andn2_saveexec_b64 s[54:55], s[54:55]
; %bb.665:                              ;   in Loop: Header=BB0_539 Depth=2
	v_cmp_gt_i16_sdwa vcc, sext(v23), v6 src0_sel:BYTE_0 src1_sel:DWORD
	v_cndmask_b32_e32 v21, v7, v10, vcc
	v_cmp_eq_u32_e32 vcc, 0, v24
	v_cndmask_b32_e32 v21, v11, v21, vcc
; %bb.666:                              ;   in Loop: Header=BB0_539 Depth=2
	s_or_b64 exec, exec, s[54:55]
.LBB0_667:                              ;   in Loop: Header=BB0_539 Depth=2
	s_or_b64 exec, exec, s[52:53]
.LBB0_668:                              ;   in Loop: Header=BB0_539 Depth=2
	s_or_b64 exec, exec, s[50:51]
	v_max_f32_e32 v21, v21, v21
	v_max_f32_e32 v3, v3, v3
	;; [unrolled: 1-line block ×3, first 2 shown]
                                        ; implicit-def: $vgpr40
                                        ; implicit-def: $vgpr28
.LBB0_669:                              ;   in Loop: Header=BB0_539 Depth=2
	s_andn2_saveexec_b64 s[48:49], s[48:49]
	s_cbranch_execz .LBB0_687
; %bb.670:                              ;   in Loop: Header=BB0_539 Depth=2
	v_mov_b32_e32 v21, 0
	v_mov_b32_e32 v3, 0
	s_and_saveexec_b64 s[50:51], s[18:19]
	s_cbranch_execz .LBB0_678
; %bb.671:                              ;   in Loop: Header=BB0_539 Depth=2
	v_cmp_ne_u16_sdwa vcc, v40, s68 src0_sel:BYTE_0 src1_sel:DWORD
	v_bfrev_b32_e32 v3, 1
	s_and_saveexec_b64 s[18:19], vcc
	s_cbranch_execz .LBB0_677
; %bb.672:                              ;   in Loop: Header=BB0_539 Depth=2
	v_and_b32_e32 v3, 0x7c0000, v2
	v_bfe_u32 v23, v2, 16, 2
	v_cmp_ne_u32_e32 vcc, s71, v3
                                        ; implicit-def: $vgpr3
	s_and_saveexec_b64 s[52:53], vcc
	s_xor_b64 s[52:53], exec, s[52:53]
	s_cbranch_execz .LBB0_674
; %bb.673:                              ;   in Loop: Header=BB0_539 Depth=2
	v_ffbh_u32_e32 v24, v23
	v_min_u32_e32 v27, 32, v24
	v_subrev_u32_e32 v24, 29, v27
	v_bfe_u32 v3, v2, 18, 5
	v_lshlrev_b64 v[24:25], v24, v[40:41]
	v_sub_u32_e32 v25, 30, v27
	v_cmp_eq_u32_e32 vcc, 0, v3
	v_and_b32_e32 v24, 3, v24
	v_cndmask_b32_e32 v3, v3, v25, vcc
	v_cndmask_b32_e32 v23, v23, v24, vcc
	v_lshlrev_b32_e32 v24, 24, v40
	v_lshl_add_u32 v3, v3, 23, v47
	v_and_or_b32 v3, v24, s67, v3
	v_lshl_or_b32 v3, v23, 21, v3
                                        ; implicit-def: $vgpr23
                                        ; implicit-def: $vgpr40
.LBB0_674:                              ;   in Loop: Header=BB0_539 Depth=2
	s_andn2_saveexec_b64 s[52:53], s[52:53]
; %bb.675:                              ;   in Loop: Header=BB0_539 Depth=2
	v_cmp_gt_i16_sdwa vcc, sext(v40), v6 src0_sel:BYTE_0 src1_sel:DWORD
	v_cndmask_b32_e32 v3, v7, v10, vcc
	v_cmp_eq_u32_e32 vcc, 0, v23
	v_cndmask_b32_e32 v3, v11, v3, vcc
; %bb.676:                              ;   in Loop: Header=BB0_539 Depth=2
	s_or_b64 exec, exec, s[52:53]
.LBB0_677:                              ;   in Loop: Header=BB0_539 Depth=2
	s_or_b64 exec, exec, s[18:19]
.LBB0_678:                              ;   in Loop: Header=BB0_539 Depth=2
	s_or_b64 exec, exec, s[50:51]
	v_and_b32_sdwa v24, v54, s64 dst_sel:DWORD dst_unused:UNUSED_PAD src0_sel:WORD_1 src1_sel:DWORD
	v_lshrrev_b32_e32 v23, 16, v54
	v_cmp_ne_u16_e32 vcc, 0, v24
	s_and_saveexec_b64 s[18:19], vcc
	s_cbranch_execz .LBB0_686
; %bb.679:                              ;   in Loop: Header=BB0_539 Depth=2
	v_cmp_ne_u16_e32 vcc, s68, v24
	v_bfrev_b32_e32 v21, 1
	s_and_saveexec_b64 s[50:51], vcc
	s_cbranch_execz .LBB0_685
; %bb.680:                              ;   in Loop: Header=BB0_539 Depth=2
	v_and_b32_e32 v21, 0x7c0000, v54
	v_bfe_u32 v24, v54, 16, 2
	v_cmp_ne_u32_e32 vcc, s71, v21
                                        ; implicit-def: $vgpr21
	s_and_saveexec_b64 s[52:53], vcc
	s_xor_b64 s[52:53], exec, s[52:53]
	s_cbranch_execz .LBB0_682
; %bb.681:                              ;   in Loop: Header=BB0_539 Depth=2
	v_ffbh_u32_e32 v23, v24
	v_min_u32_e32 v23, 32, v23
	v_bfe_u32 v21, v54, 18, 5
	v_subrev_u32_e32 v25, 29, v23
	v_lshlrev_b64 v[36:37], v25, v[28:29]
	v_sub_u32_e32 v23, 30, v23
	v_cmp_eq_u32_e32 vcc, 0, v21
	v_and_b32_e32 v25, 3, v36
	v_cndmask_b32_e32 v21, v21, v23, vcc
	v_cndmask_b32_e32 v23, v24, v25, vcc
	v_lshlrev_b32_e32 v24, 24, v28
	v_lshl_add_u32 v21, v21, 23, v47
	v_and_or_b32 v21, v24, s67, v21
	v_lshl_or_b32 v21, v23, 21, v21
                                        ; implicit-def: $vgpr24
                                        ; implicit-def: $vgpr23
.LBB0_682:                              ;   in Loop: Header=BB0_539 Depth=2
	s_andn2_saveexec_b64 s[52:53], s[52:53]
; %bb.683:                              ;   in Loop: Header=BB0_539 Depth=2
	v_cmp_gt_i16_sdwa vcc, sext(v23), v6 src0_sel:BYTE_0 src1_sel:DWORD
	v_cndmask_b32_e32 v21, v7, v10, vcc
	v_cmp_eq_u32_e32 vcc, 0, v24
	v_cndmask_b32_e32 v21, v11, v21, vcc
; %bb.684:                              ;   in Loop: Header=BB0_539 Depth=2
	s_or_b64 exec, exec, s[52:53]
.LBB0_685:                              ;   in Loop: Header=BB0_539 Depth=2
	s_or_b64 exec, exec, s[50:51]
.LBB0_686:                              ;   in Loop: Header=BB0_539 Depth=2
	s_or_b64 exec, exec, s[18:19]
	v_max_f32_e32 v21, v21, v21
	v_max_f32_e32 v3, v3, v3
	v_min_f32_e32 v23, v3, v21
.LBB0_687:                              ;   in Loop: Header=BB0_539 Depth=2
	s_or_b64 exec, exec, s[48:49]
	v_and_b32_sdwa v3, v23, s68 dst_sel:DWORD dst_unused:UNUSED_PAD src0_sel:BYTE_3 src1_sel:DWORD
	v_and_b32_e32 v28, 0x7f800000, v23
	v_mov_b32_e32 v29, v55
	v_and_b32_e32 v24, 0x7fffff, v23
	v_mov_b32_e32 v25, v55
	v_or_b32_e32 v21, 0x7b, v3
	v_cmp_ne_u64_e32 vcc, s[40:41], v[28:29]
	s_and_saveexec_b64 s[18:19], vcc
	s_xor_b64 s[48:49], exec, s[18:19]
	s_cbranch_execz .LBB0_697
; %bb.688:                              ;   in Loop: Header=BB0_539 Depth=2
	v_and_b32_e32 v28, 0x7fffffff, v23
	v_mov_b32_e32 v29, v55
	v_cmp_gt_u64_e32 vcc, s[42:43], v[28:29]
	s_and_saveexec_b64 s[50:51], vcc
	s_cbranch_execz .LBB0_696
; %bb.689:                              ;   in Loop: Header=BB0_539 Depth=2
	v_cmp_ne_u32_e32 vcc, 0, v23
	v_mov_b32_e32 v21, 0
	s_and_saveexec_b64 s[52:53], vcc
	s_cbranch_execz .LBB0_695
; %bb.690:                              ;   in Loop: Header=BB0_539 Depth=2
	v_bfe_u32 v21, v23, 23, 8
	v_sub_u32_e32 v27, 0x71, v21
	v_cmp_gt_u32_e32 vcc, s69, v21
	v_add_u32_e32 v23, 0xffffff81, v21
	v_cndmask_b32_e32 v27, 0, v27, vcc
	v_cmp_eq_u32_e32 vcc, 0, v21
	v_cndmask_b32_e32 v21, v23, v30, vcc
	v_cndmask_b32_e32 v23, v27, v48, vcc
	v_or_b32_e32 v28, 0x800000, v24
	v_add_u32_e32 v27, 21, v23
	v_cndmask_b32_e32 v24, v28, v24, vcc
	v_lshlrev_b64 v[28:29], v27, -1
	v_not_b32_e32 v27, v29
	v_not_b32_e32 v28, v28
	v_and_b32_e32 v29, 0, v27
	v_and_b32_e32 v28, v24, v28
	v_add_u32_e32 v27, 20, v23
	v_lshrrev_b64 v[24:25], v23, v[24:25]
	v_lshlrev_b64 v[36:37], v27, 1
	v_lshrrev_b32_e32 v27, 23, v24
	v_add3_u32 v27, v23, v21, v27
	v_bfe_u32 v21, v24, 21, 1
	v_add_u32_e32 v21, -1, v21
	v_cmp_eq_u64_e32 vcc, v[28:29], v[36:37]
	v_cndmask_b32_e32 v21, 0, v21, vcc
	v_add_u32_e32 v21, v21, v24
	v_and_b32_e32 v21, 0x1fffff, v21
	v_add_co_u32_e32 v24, vcc, v21, v24
	v_add_u32_e32 v23, 14, v27
	v_addc_co_u32_e32 v25, vcc, 0, v25, vcc
	v_cmp_ne_u32_e32 vcc, 0, v23
                                        ; implicit-def: $vgpr21
	s_and_saveexec_b64 s[18:19], vcc
	s_xor_b64 s[18:19], exec, s[18:19]
; %bb.691:                              ;   in Loop: Header=BB0_539 Depth=2
	v_add_u32_e32 v21, 15, v27
	v_cmp_lt_u64_e32 vcc, s[44:45], v[24:25]
	v_cndmask_b32_e32 v21, v23, v21, vcc
	v_cndmask_b32_e64 v23, 0, 1, vcc
	v_lshrrev_b64 v[24:25], v23, v[24:25]
; %bb.692:                              ;   in Loop: Header=BB0_539 Depth=2
	s_andn2_saveexec_b64 s[18:19], s[18:19]
; %bb.693:                              ;   in Loop: Header=BB0_539 Depth=2
	v_bfe_u32 v21, v24, 23, 1
; %bb.694:                              ;   in Loop: Header=BB0_539 Depth=2
	s_or_b64 exec, exec, s[18:19]
	v_lshrrev_b64 v[24:25], 21, v[24:25]
	v_cmp_gt_i32_e32 vcc, 32, v21
	v_cndmask_b32_e32 v25, 0, v25, vcc
	v_cndmask_b32_e32 v24, 3, v24, vcc
	v_cmp_eq_u32_e32 vcc, 0, v21
	v_min_i32_e32 v21, 31, v21
	v_cmp_eq_u64_e64 s[18:19], 0, v[24:25]
	v_lshlrev_b32_e32 v21, 2, v21
	v_and_or_b32 v21, v24, 3, v21
	s_and_b64 s[18:19], vcc, s[18:19]
	v_cndmask_b32_e64 v21, v21, 0, s[18:19]
	v_or_b32_e32 v21, v21, v3
.LBB0_695:                              ;   in Loop: Header=BB0_539 Depth=2
	s_or_b64 exec, exec, s[52:53]
.LBB0_696:                              ;   in Loop: Header=BB0_539 Depth=2
	s_or_b64 exec, exec, s[50:51]
                                        ; implicit-def: $vgpr23
                                        ; implicit-def: $vgpr24_vgpr25
.LBB0_697:                              ;   in Loop: Header=BB0_539 Depth=2
	s_andn2_saveexec_b64 s[18:19], s[48:49]
; %bb.698:                              ;   in Loop: Header=BB0_539 Depth=2
	v_or_b32_sdwa v3, v23, s70 dst_sel:DWORD dst_unused:UNUSED_PAD src0_sel:BYTE_3 src1_sel:DWORD
	v_cmp_eq_u64_e32 vcc, 0, v[24:25]
	v_cndmask_b32_e32 v21, v3, v21, vcc
; %bb.699:                              ;   in Loop: Header=BB0_539 Depth=2
	s_or_b64 exec, exec, s[18:19]
	v_lshrrev_b32_e32 v24, 24, v2
	v_lshrrev_b32_e32 v28, 24, v54
	v_cmp_lt_u32_e32 vcc, s39, v2
                                        ; implicit-def: $vgpr3
	s_and_saveexec_b64 s[18:19], s[14:15]
	s_xor_b64 s[48:49], exec, s[18:19]
	s_cbranch_execz .LBB0_717
; %bb.700:                              ;   in Loop: Header=BB0_539 Depth=2
	v_mov_b32_e32 v23, 0
	v_mov_b32_e32 v3, 0
	s_and_saveexec_b64 s[50:51], vcc
	s_cbranch_execz .LBB0_708
; %bb.701:                              ;   in Loop: Header=BB0_539 Depth=2
	v_cmp_ne_u32_e64 s[18:19], s68, v24
	v_bfrev_b32_e32 v3, 1
	s_and_saveexec_b64 s[52:53], s[18:19]
	s_cbranch_execz .LBB0_707
; %bb.702:                              ;   in Loop: Header=BB0_539 Depth=2
	v_and_b32_e32 v3, 0x7c000000, v2
	v_bfe_u32 v25, v2, 24, 2
	v_cmp_ne_u32_e64 s[18:19], s72, v3
                                        ; implicit-def: $vgpr3
	s_and_saveexec_b64 s[54:55], s[18:19]
	s_xor_b64 s[54:55], exec, s[54:55]
	s_cbranch_execz .LBB0_704
; %bb.703:                              ;   in Loop: Header=BB0_539 Depth=2
	v_ffbh_u32_e32 v27, v25
	v_min_u32_e32 v27, 32, v27
	v_bfe_u32 v3, v2, 26, 5
	v_subrev_u32_e32 v29, 29, v27
	v_lshlrev_b64 v[36:37], v29, v[24:25]
	v_sub_u32_e32 v24, 30, v27
	v_cmp_eq_u32_e64 s[18:19], 0, v3
	v_cndmask_b32_e64 v3, v3, v24, s[18:19]
	v_and_b32_e32 v27, 3, v36
	v_lshl_add_u32 v3, v3, 23, v47
	v_cndmask_b32_e64 v24, v25, v27, s[18:19]
	v_and_or_b32 v2, v2, s67, v3
	v_lshl_or_b32 v3, v24, 21, v2
                                        ; implicit-def: $vgpr25
.LBB0_704:                              ;   in Loop: Header=BB0_539 Depth=2
	s_andn2_saveexec_b64 s[54:55], s[54:55]
; %bb.705:                              ;   in Loop: Header=BB0_539 Depth=2
	v_cmp_lt_i32_e64 s[18:19], -1, v2
	v_cndmask_b32_e64 v2, v7, v10, s[18:19]
	v_cmp_eq_u32_e64 s[18:19], 0, v25
	v_cndmask_b32_e64 v3, v11, v2, s[18:19]
; %bb.706:                              ;   in Loop: Header=BB0_539 Depth=2
	s_or_b64 exec, exec, s[54:55]
.LBB0_707:                              ;   in Loop: Header=BB0_539 Depth=2
	s_or_b64 exec, exec, s[52:53]
.LBB0_708:                              ;   in Loop: Header=BB0_539 Depth=2
	s_or_b64 exec, exec, s[50:51]
	v_cmp_lt_u32_e64 s[18:19], s39, v54
	s_and_saveexec_b64 s[50:51], s[18:19]
	s_cbranch_execz .LBB0_716
; %bb.709:                              ;   in Loop: Header=BB0_539 Depth=2
	v_cmp_ne_u32_e64 s[18:19], s68, v28
	v_bfrev_b32_e32 v23, 1
	s_and_saveexec_b64 s[52:53], s[18:19]
	s_cbranch_execz .LBB0_715
; %bb.710:                              ;   in Loop: Header=BB0_539 Depth=2
	v_and_b32_e32 v23, 0x7c000000, v54
	v_bfe_u32 v2, v54, 24, 2
	v_cmp_ne_u32_e64 s[18:19], s72, v23
                                        ; implicit-def: $vgpr23
	s_and_saveexec_b64 s[54:55], s[18:19]
	s_xor_b64 s[54:55], exec, s[54:55]
	s_cbranch_execz .LBB0_712
; %bb.711:                              ;   in Loop: Header=BB0_539 Depth=2
	v_ffbh_u32_e32 v24, v2
	v_min_u32_e32 v27, 32, v24
	v_subrev_u32_e32 v24, 29, v27
	v_bfe_u32 v23, v54, 26, 5
	v_lshlrev_b64 v[24:25], v24, v[28:29]
	v_sub_u32_e32 v25, 30, v27
	v_cmp_eq_u32_e64 s[18:19], 0, v23
	v_cndmask_b32_e64 v23, v23, v25, s[18:19]
	v_and_b32_e32 v24, 3, v24
	v_lshl_add_u32 v23, v23, 23, v47
	v_cndmask_b32_e64 v2, v2, v24, s[18:19]
	v_and_or_b32 v23, v54, s67, v23
	v_lshl_or_b32 v23, v2, 21, v23
                                        ; implicit-def: $vgpr2
.LBB0_712:                              ;   in Loop: Header=BB0_539 Depth=2
	s_andn2_saveexec_b64 s[54:55], s[54:55]
; %bb.713:                              ;   in Loop: Header=BB0_539 Depth=2
	v_cmp_lt_i32_e64 s[18:19], -1, v54
	v_cndmask_b32_e64 v23, v7, v10, s[18:19]
	v_cmp_eq_u32_e64 s[18:19], 0, v2
	v_cndmask_b32_e64 v23, v11, v23, s[18:19]
; %bb.714:                              ;   in Loop: Header=BB0_539 Depth=2
	s_or_b64 exec, exec, s[54:55]
.LBB0_715:                              ;   in Loop: Header=BB0_539 Depth=2
	s_or_b64 exec, exec, s[52:53]
.LBB0_716:                              ;   in Loop: Header=BB0_539 Depth=2
	s_or_b64 exec, exec, s[50:51]
	v_max_f32_e32 v2, v23, v23
	v_max_f32_e32 v3, v3, v3
	;; [unrolled: 1-line block ×3, first 2 shown]
                                        ; implicit-def: $vgpr28
                                        ; implicit-def: $vgpr24
.LBB0_717:                              ;   in Loop: Header=BB0_539 Depth=2
	s_andn2_saveexec_b64 s[18:19], s[48:49]
	s_cbranch_execz .LBB0_735
; %bb.718:                              ;   in Loop: Header=BB0_539 Depth=2
	v_mov_b32_e32 v23, 0
	v_mov_b32_e32 v3, 0
	s_and_saveexec_b64 s[48:49], vcc
	s_cbranch_execz .LBB0_726
; %bb.719:                              ;   in Loop: Header=BB0_539 Depth=2
	v_cmp_ne_u32_e32 vcc, s68, v24
	v_bfrev_b32_e32 v3, 1
	s_and_saveexec_b64 s[50:51], vcc
	s_cbranch_execz .LBB0_725
; %bb.720:                              ;   in Loop: Header=BB0_539 Depth=2
	v_and_b32_e32 v3, 0x7c000000, v2
	v_bfe_u32 v25, v2, 24, 2
	v_cmp_ne_u32_e32 vcc, s72, v3
                                        ; implicit-def: $vgpr3
	s_and_saveexec_b64 s[52:53], vcc
	s_xor_b64 s[52:53], exec, s[52:53]
	s_cbranch_execz .LBB0_722
; %bb.721:                              ;   in Loop: Header=BB0_539 Depth=2
	v_ffbh_u32_e32 v27, v25
	v_min_u32_e32 v27, 32, v27
	v_bfe_u32 v3, v2, 26, 5
	v_subrev_u32_e32 v29, 29, v27
	v_lshlrev_b64 v[36:37], v29, v[24:25]
	v_sub_u32_e32 v24, 30, v27
	v_cmp_eq_u32_e32 vcc, 0, v3
	v_cndmask_b32_e32 v3, v3, v24, vcc
	v_and_b32_e32 v27, 3, v36
	v_lshl_add_u32 v3, v3, 23, v47
	v_cndmask_b32_e32 v24, v25, v27, vcc
	v_and_or_b32 v2, v2, s67, v3
	v_lshl_or_b32 v3, v24, 21, v2
                                        ; implicit-def: $vgpr25
.LBB0_722:                              ;   in Loop: Header=BB0_539 Depth=2
	s_andn2_saveexec_b64 s[52:53], s[52:53]
; %bb.723:                              ;   in Loop: Header=BB0_539 Depth=2
	v_cmp_lt_i32_e32 vcc, -1, v2
	v_cndmask_b32_e32 v2, v7, v10, vcc
	v_cmp_eq_u32_e32 vcc, 0, v25
	v_cndmask_b32_e32 v3, v11, v2, vcc
; %bb.724:                              ;   in Loop: Header=BB0_539 Depth=2
	s_or_b64 exec, exec, s[52:53]
.LBB0_725:                              ;   in Loop: Header=BB0_539 Depth=2
	s_or_b64 exec, exec, s[50:51]
.LBB0_726:                              ;   in Loop: Header=BB0_539 Depth=2
	s_or_b64 exec, exec, s[48:49]
	v_cmp_lt_u32_e32 vcc, s39, v54
	s_and_saveexec_b64 s[48:49], vcc
	s_cbranch_execz .LBB0_734
; %bb.727:                              ;   in Loop: Header=BB0_539 Depth=2
	v_cmp_ne_u32_e32 vcc, s68, v28
	v_bfrev_b32_e32 v23, 1
	s_and_saveexec_b64 s[50:51], vcc
	s_cbranch_execz .LBB0_733
; %bb.728:                              ;   in Loop: Header=BB0_539 Depth=2
	v_and_b32_e32 v23, 0x7c000000, v54
	v_bfe_u32 v2, v54, 24, 2
	v_cmp_ne_u32_e32 vcc, s72, v23
                                        ; implicit-def: $vgpr23
	s_and_saveexec_b64 s[52:53], vcc
	s_xor_b64 s[52:53], exec, s[52:53]
	s_cbranch_execz .LBB0_730
; %bb.729:                              ;   in Loop: Header=BB0_539 Depth=2
	v_ffbh_u32_e32 v24, v2
	v_min_u32_e32 v27, 32, v24
	v_subrev_u32_e32 v24, 29, v27
	v_bfe_u32 v23, v54, 26, 5
	v_lshlrev_b64 v[24:25], v24, v[28:29]
	v_sub_u32_e32 v25, 30, v27
	v_cmp_eq_u32_e32 vcc, 0, v23
	v_cndmask_b32_e32 v23, v23, v25, vcc
	v_and_b32_e32 v24, 3, v24
	v_lshl_add_u32 v23, v23, 23, v47
	v_cndmask_b32_e32 v2, v2, v24, vcc
	v_and_or_b32 v23, v54, s67, v23
	v_lshl_or_b32 v23, v2, 21, v23
                                        ; implicit-def: $vgpr2
.LBB0_730:                              ;   in Loop: Header=BB0_539 Depth=2
	s_andn2_saveexec_b64 s[52:53], s[52:53]
; %bb.731:                              ;   in Loop: Header=BB0_539 Depth=2
	v_cmp_lt_i32_e32 vcc, -1, v54
	v_cndmask_b32_e32 v23, v7, v10, vcc
	v_cmp_eq_u32_e32 vcc, 0, v2
	v_cndmask_b32_e32 v23, v11, v23, vcc
; %bb.732:                              ;   in Loop: Header=BB0_539 Depth=2
	s_or_b64 exec, exec, s[52:53]
.LBB0_733:                              ;   in Loop: Header=BB0_539 Depth=2
	s_or_b64 exec, exec, s[50:51]
.LBB0_734:                              ;   in Loop: Header=BB0_539 Depth=2
	s_or_b64 exec, exec, s[48:49]
	v_max_f32_e32 v2, v23, v23
	v_max_f32_e32 v3, v3, v3
	v_min_f32_e32 v3, v3, v2
.LBB0_735:                              ;   in Loop: Header=BB0_539 Depth=2
	s_or_b64 exec, exec, s[18:19]
	v_and_b32_sdwa v23, v3, s68 dst_sel:DWORD dst_unused:UNUSED_PAD src0_sel:BYTE_3 src1_sel:DWORD
	v_and_b32_e32 v24, 0x7f800000, v3
	v_mov_b32_e32 v25, v55
	v_and_b32_e32 v54, 0x7fffff, v3
	v_or_b32_e32 v27, 0x7b, v23
	v_cmp_ne_u64_e32 vcc, s[40:41], v[24:25]
	s_and_saveexec_b64 s[18:19], vcc
	s_xor_b64 s[48:49], exec, s[18:19]
	s_cbranch_execz .LBB0_745
; %bb.736:                              ;   in Loop: Header=BB0_539 Depth=2
	v_and_b32_e32 v24, 0x7fffffff, v3
	v_mov_b32_e32 v25, v55
	v_cmp_gt_u64_e32 vcc, s[42:43], v[24:25]
	s_and_saveexec_b64 s[50:51], vcc
	s_cbranch_execz .LBB0_744
; %bb.737:                              ;   in Loop: Header=BB0_539 Depth=2
	v_cmp_ne_u32_e32 vcc, 0, v3
	v_mov_b32_e32 v27, 0
	s_and_saveexec_b64 s[52:53], vcc
	s_cbranch_execz .LBB0_743
; %bb.738:                              ;   in Loop: Header=BB0_539 Depth=2
	v_bfe_u32 v2, v3, 23, 8
	v_sub_u32_e32 v24, 0x71, v2
	v_cmp_gt_u32_e32 vcc, s69, v2
	v_cndmask_b32_e32 v24, 0, v24, vcc
	v_cmp_eq_u32_e32 vcc, 0, v2
	v_or_b32_e32 v25, 0x800000, v54
	v_cndmask_b32_e32 v24, v24, v48, vcc
	v_add_u32_e32 v3, 0xffffff81, v2
	v_cndmask_b32_e32 v54, v25, v54, vcc
	v_add_u32_e32 v2, 21, v24
	v_cndmask_b32_e32 v27, v3, v30, vcc
	v_lshlrev_b64 v[2:3], v2, -1
	v_add_u32_e32 v25, 20, v24
	v_lshrrev_b64 v[36:37], v24, v[54:55]
	v_not_b32_e32 v3, v3
	v_not_b32_e32 v2, v2
	v_lshlrev_b64 v[28:29], v25, 1
	v_lshrrev_b32_e32 v25, 23, v36
	v_and_b32_e32 v3, 0, v3
	v_and_b32_e32 v2, v54, v2
	v_add3_u32 v27, v24, v27, v25
	v_bfe_u32 v24, v36, 21, 1
	v_add_u32_e32 v24, -1, v24
	v_cmp_eq_u64_e32 vcc, v[2:3], v[28:29]
	v_cndmask_b32_e32 v2, 0, v24, vcc
	v_add_u32_e32 v2, v2, v36
	v_and_b32_e32 v2, 0x1fffff, v2
	v_add_co_u32_e32 v2, vcc, v2, v36
	v_add_u32_e32 v25, 14, v27
	v_addc_co_u32_e32 v3, vcc, 0, v37, vcc
	v_cmp_ne_u32_e32 vcc, 0, v25
                                        ; implicit-def: $vgpr24
	s_and_saveexec_b64 s[18:19], vcc
	s_xor_b64 s[18:19], exec, s[18:19]
; %bb.739:                              ;   in Loop: Header=BB0_539 Depth=2
	v_add_u32_e32 v24, 15, v27
	v_cmp_lt_u64_e32 vcc, s[44:45], v[2:3]
	v_cndmask_b32_e32 v24, v25, v24, vcc
	v_cndmask_b32_e64 v25, 0, 1, vcc
	v_lshrrev_b64 v[2:3], v25, v[2:3]
; %bb.740:                              ;   in Loop: Header=BB0_539 Depth=2
	s_andn2_saveexec_b64 s[18:19], s[18:19]
; %bb.741:                              ;   in Loop: Header=BB0_539 Depth=2
	v_bfe_u32 v24, v2, 23, 1
; %bb.742:                              ;   in Loop: Header=BB0_539 Depth=2
	s_or_b64 exec, exec, s[18:19]
	v_lshrrev_b64 v[2:3], 21, v[2:3]
	v_cmp_gt_i32_e32 vcc, 32, v24
	v_cndmask_b32_e32 v3, 0, v3, vcc
	v_cndmask_b32_e32 v2, 3, v2, vcc
	v_cmp_eq_u64_e64 s[18:19], 0, v[2:3]
	v_min_i32_e32 v3, 31, v24
	v_cmp_eq_u32_e32 vcc, 0, v24
	v_lshlrev_b32_e32 v3, 2, v3
	v_and_or_b32 v2, v2, 3, v3
	s_and_b64 s[18:19], vcc, s[18:19]
	v_cndmask_b32_e64 v2, v2, 0, s[18:19]
	v_or_b32_e32 v27, v2, v23
.LBB0_743:                              ;   in Loop: Header=BB0_539 Depth=2
	s_or_b64 exec, exec, s[52:53]
.LBB0_744:                              ;   in Loop: Header=BB0_539 Depth=2
	s_or_b64 exec, exec, s[50:51]
                                        ; implicit-def: $vgpr3
.LBB0_745:                              ;   in Loop: Header=BB0_539 Depth=2
	s_andn2_saveexec_b64 s[18:19], s[48:49]
; %bb.746:                              ;   in Loop: Header=BB0_539 Depth=2
	v_or_b32_sdwa v2, v3, s70 dst_sel:DWORD dst_unused:UNUSED_PAD src0_sel:BYTE_3 src1_sel:DWORD
	v_cmp_eq_u64_e32 vcc, 0, v[54:55]
	v_cndmask_b32_e32 v27, v2, v27, vcc
; %bb.747:                              ;   in Loop: Header=BB0_539 Depth=2
	s_or_b64 exec, exec, s[18:19]
	v_alignbit_b32 v54, v32, v33, v22
	v_cmp_ne_u16_sdwa s[18:19], v4, v55 src0_sel:BYTE_0 src1_sel:DWORD
                                        ; implicit-def: $vgpr23
	s_and_saveexec_b64 vcc, s[14:15]
	s_xor_b64 s[48:49], exec, vcc
	s_cbranch_execz .LBB0_765
; %bb.748:                              ;   in Loop: Header=BB0_539 Depth=2
	v_mov_b32_e32 v3, 0
	v_mov_b32_e32 v2, 0
	s_and_saveexec_b64 s[50:51], s[18:19]
	s_cbranch_execz .LBB0_756
; %bb.749:                              ;   in Loop: Header=BB0_539 Depth=2
	v_cmp_ne_u16_sdwa vcc, sext(v4), s65 src0_sel:BYTE_0 src1_sel:DWORD
	v_bfrev_b32_e32 v2, 1
	s_and_saveexec_b64 s[52:53], vcc
	s_cbranch_execz .LBB0_755
; %bb.750:                              ;   in Loop: Header=BB0_539 Depth=2
	v_and_b32_e32 v2, 0x7c, v4
	v_and_b32_e32 v22, 3, v4
	v_cmp_ne_u32_e32 vcc, s66, v2
                                        ; implicit-def: $vgpr2
	s_and_saveexec_b64 s[54:55], vcc
	s_xor_b64 s[54:55], exec, s[54:55]
	s_cbranch_execz .LBB0_752
; %bb.751:                              ;   in Loop: Header=BB0_539 Depth=2
	v_ffbh_u32_e32 v23, v22
	v_bfe_u32 v2, v4, 2, 5
	v_min_u32_e32 v23, 32, v23
	v_subrev_u32_e32 v24, 29, v23
	v_sub_u32_e32 v23, 30, v23
	v_cmp_eq_u32_e32 vcc, 0, v2
	v_lshlrev_b64 v[24:25], v24, v[4:5]
	v_cndmask_b32_e32 v2, v2, v23, vcc
	v_and_b32_e32 v24, 3, v24
	v_lshlrev_b32_e32 v23, 24, v4
	v_lshl_add_u32 v2, v2, 23, v47
	v_cndmask_b32_e32 v22, v22, v24, vcc
	v_and_or_b32 v2, v23, s67, v2
	v_lshl_or_b32 v2, v22, 21, v2
                                        ; implicit-def: $vgpr22
.LBB0_752:                              ;   in Loop: Header=BB0_539 Depth=2
	s_andn2_saveexec_b64 s[54:55], s[54:55]
; %bb.753:                              ;   in Loop: Header=BB0_539 Depth=2
	v_cmp_gt_i16_sdwa vcc, sext(v4), v6 src0_sel:BYTE_0 src1_sel:DWORD
	v_cndmask_b32_e32 v2, v7, v10, vcc
	v_cmp_eq_u32_e32 vcc, 0, v22
	v_cndmask_b32_e32 v2, v11, v2, vcc
; %bb.754:                              ;   in Loop: Header=BB0_539 Depth=2
	s_or_b64 exec, exec, s[54:55]
.LBB0_755:                              ;   in Loop: Header=BB0_539 Depth=2
	s_or_b64 exec, exec, s[52:53]
.LBB0_756:                              ;   in Loop: Header=BB0_539 Depth=2
	s_or_b64 exec, exec, s[50:51]
	v_cmp_ne_u16_sdwa vcc, sext(v54), v55 src0_sel:BYTE_0 src1_sel:DWORD
	s_and_saveexec_b64 s[50:51], vcc
	s_cbranch_execz .LBB0_764
; %bb.757:                              ;   in Loop: Header=BB0_539 Depth=2
	v_cmp_ne_u16_sdwa vcc, sext(v54), s65 src0_sel:BYTE_0 src1_sel:DWORD
	v_bfrev_b32_e32 v3, 1
	s_and_saveexec_b64 s[52:53], vcc
	s_cbranch_execz .LBB0_763
; %bb.758:                              ;   in Loop: Header=BB0_539 Depth=2
	v_and_b32_e32 v3, 0x7c, v54
	v_and_b32_e32 v22, 3, v54
	v_cmp_ne_u32_e32 vcc, s66, v3
                                        ; implicit-def: $vgpr3
	s_and_saveexec_b64 s[54:55], vcc
	s_xor_b64 s[54:55], exec, s[54:55]
	s_cbranch_execz .LBB0_760
; %bb.759:                              ;   in Loop: Header=BB0_539 Depth=2
	v_ffbh_u32_e32 v23, v22
	v_bfe_u32 v3, v54, 2, 5
	v_min_u32_e32 v23, 32, v23
	v_subrev_u32_e32 v24, 29, v23
	v_sub_u32_e32 v23, 30, v23
	v_cmp_eq_u32_e32 vcc, 0, v3
	v_lshlrev_b64 v[24:25], v24, v[54:55]
	v_cndmask_b32_e32 v3, v3, v23, vcc
	v_and_b32_e32 v24, 3, v24
	v_lshlrev_b32_e32 v23, 24, v54
	v_lshl_add_u32 v3, v3, 23, v47
	v_cndmask_b32_e32 v22, v22, v24, vcc
	v_and_or_b32 v3, v23, s67, v3
	v_lshl_or_b32 v3, v22, 21, v3
                                        ; implicit-def: $vgpr22
.LBB0_760:                              ;   in Loop: Header=BB0_539 Depth=2
	s_andn2_saveexec_b64 s[54:55], s[54:55]
; %bb.761:                              ;   in Loop: Header=BB0_539 Depth=2
	v_cmp_gt_i16_sdwa vcc, sext(v54), v6 src0_sel:BYTE_0 src1_sel:DWORD
	v_cndmask_b32_e32 v3, v7, v10, vcc
	v_cmp_eq_u32_e32 vcc, 0, v22
	v_cndmask_b32_e32 v3, v11, v3, vcc
; %bb.762:                              ;   in Loop: Header=BB0_539 Depth=2
	s_or_b64 exec, exec, s[54:55]
.LBB0_763:                              ;   in Loop: Header=BB0_539 Depth=2
	s_or_b64 exec, exec, s[52:53]
.LBB0_764:                              ;   in Loop: Header=BB0_539 Depth=2
	s_or_b64 exec, exec, s[50:51]
	v_max_f32_e32 v3, v3, v3
	v_max_f32_e32 v2, v2, v2
	;; [unrolled: 1-line block ×3, first 2 shown]
.LBB0_765:                              ;   in Loop: Header=BB0_539 Depth=2
	s_andn2_saveexec_b64 s[48:49], s[48:49]
	s_cbranch_execz .LBB0_783
; %bb.766:                              ;   in Loop: Header=BB0_539 Depth=2
	v_mov_b32_e32 v3, 0
	v_mov_b32_e32 v2, 0
	s_and_saveexec_b64 s[50:51], s[18:19]
	s_cbranch_execz .LBB0_774
; %bb.767:                              ;   in Loop: Header=BB0_539 Depth=2
	v_cmp_ne_u16_sdwa vcc, sext(v4), s65 src0_sel:BYTE_0 src1_sel:DWORD
	v_bfrev_b32_e32 v2, 1
	s_and_saveexec_b64 s[18:19], vcc
	s_cbranch_execz .LBB0_773
; %bb.768:                              ;   in Loop: Header=BB0_539 Depth=2
	v_and_b32_e32 v2, 0x7c, v4
	v_and_b32_e32 v22, 3, v4
	v_cmp_ne_u32_e32 vcc, s66, v2
                                        ; implicit-def: $vgpr2
	s_and_saveexec_b64 s[52:53], vcc
	s_xor_b64 s[52:53], exec, s[52:53]
	s_cbranch_execz .LBB0_770
; %bb.769:                              ;   in Loop: Header=BB0_539 Depth=2
	v_ffbh_u32_e32 v23, v22
	v_min_u32_e32 v23, 32, v23
	v_bfe_u32 v2, v4, 2, 5
	v_subrev_u32_e32 v24, 29, v23
	v_lshlrev_b64 v[24:25], v24, v[4:5]
	v_sub_u32_e32 v5, 30, v23
	v_cmp_eq_u32_e32 vcc, 0, v2
	v_and_b32_e32 v23, 3, v24
	v_cndmask_b32_e32 v2, v2, v5, vcc
	v_cndmask_b32_e32 v5, v22, v23, vcc
	v_lshlrev_b32_e32 v22, 24, v4
	v_lshl_add_u32 v2, v2, 23, v47
	v_and_or_b32 v2, v22, s67, v2
	v_lshl_or_b32 v2, v5, 21, v2
                                        ; implicit-def: $vgpr22
.LBB0_770:                              ;   in Loop: Header=BB0_539 Depth=2
	s_andn2_saveexec_b64 s[52:53], s[52:53]
; %bb.771:                              ;   in Loop: Header=BB0_539 Depth=2
	v_cmp_gt_i16_sdwa vcc, sext(v4), v6 src0_sel:BYTE_0 src1_sel:DWORD
	v_cndmask_b32_e32 v2, v7, v10, vcc
	v_cmp_eq_u32_e32 vcc, 0, v22
	v_cndmask_b32_e32 v2, v11, v2, vcc
; %bb.772:                              ;   in Loop: Header=BB0_539 Depth=2
	s_or_b64 exec, exec, s[52:53]
.LBB0_773:                              ;   in Loop: Header=BB0_539 Depth=2
	s_or_b64 exec, exec, s[18:19]
.LBB0_774:                              ;   in Loop: Header=BB0_539 Depth=2
	s_or_b64 exec, exec, s[50:51]
	v_cmp_ne_u16_sdwa vcc, sext(v54), v55 src0_sel:BYTE_0 src1_sel:DWORD
	s_and_saveexec_b64 s[18:19], vcc
	s_cbranch_execz .LBB0_782
; %bb.775:                              ;   in Loop: Header=BB0_539 Depth=2
	v_cmp_ne_u16_sdwa vcc, sext(v54), s65 src0_sel:BYTE_0 src1_sel:DWORD
	v_bfrev_b32_e32 v3, 1
	s_and_saveexec_b64 s[50:51], vcc
	s_cbranch_execz .LBB0_781
; %bb.776:                              ;   in Loop: Header=BB0_539 Depth=2
	v_and_b32_e32 v3, 0x7c, v54
	v_and_b32_e32 v5, 3, v54
	v_cmp_ne_u32_e32 vcc, s66, v3
                                        ; implicit-def: $vgpr3
	s_and_saveexec_b64 s[52:53], vcc
	s_xor_b64 s[52:53], exec, s[52:53]
	s_cbranch_execz .LBB0_778
; %bb.777:                              ;   in Loop: Header=BB0_539 Depth=2
	v_ffbh_u32_e32 v22, v5
	v_min_u32_e32 v24, 32, v22
	v_subrev_u32_e32 v22, 29, v24
	v_bfe_u32 v3, v54, 2, 5
	v_lshlrev_b64 v[22:23], v22, v[54:55]
	v_sub_u32_e32 v23, 30, v24
	v_cmp_eq_u32_e32 vcc, 0, v3
	v_and_b32_e32 v22, 3, v22
	v_cndmask_b32_e32 v3, v3, v23, vcc
	v_cndmask_b32_e32 v5, v5, v22, vcc
	v_lshlrev_b32_e32 v22, 24, v54
	v_lshl_add_u32 v3, v3, 23, v47
	v_and_or_b32 v3, v22, s67, v3
	v_lshl_or_b32 v3, v5, 21, v3
                                        ; implicit-def: $vgpr5
.LBB0_778:                              ;   in Loop: Header=BB0_539 Depth=2
	s_andn2_saveexec_b64 s[52:53], s[52:53]
; %bb.779:                              ;   in Loop: Header=BB0_539 Depth=2
	v_cmp_gt_i16_sdwa vcc, sext(v54), v6 src0_sel:BYTE_0 src1_sel:DWORD
	v_cndmask_b32_e32 v3, v7, v10, vcc
	v_cmp_eq_u32_e32 vcc, 0, v5
	v_cndmask_b32_e32 v3, v11, v3, vcc
; %bb.780:                              ;   in Loop: Header=BB0_539 Depth=2
	s_or_b64 exec, exec, s[52:53]
.LBB0_781:                              ;   in Loop: Header=BB0_539 Depth=2
	s_or_b64 exec, exec, s[50:51]
.LBB0_782:                              ;   in Loop: Header=BB0_539 Depth=2
	s_or_b64 exec, exec, s[18:19]
	v_max_f32_e32 v3, v3, v3
	v_max_f32_e32 v2, v2, v2
	v_min_f32_e32 v23, v2, v3
.LBB0_783:                              ;   in Loop: Header=BB0_539 Depth=2
	s_or_b64 exec, exec, s[48:49]
	v_and_b32_sdwa v5, v23, s68 dst_sel:DWORD dst_unused:UNUSED_PAD src0_sel:BYTE_3 src1_sel:DWORD
	v_and_b32_e32 v24, 0x7f800000, v23
	v_mov_b32_e32 v25, v55
	v_and_b32_e32 v2, 0x7fffff, v23
	v_mov_b32_e32 v3, v55
	v_or_b32_e32 v22, 0x7b, v5
	v_cmp_ne_u64_e32 vcc, s[40:41], v[24:25]
	s_and_saveexec_b64 s[18:19], vcc
	s_xor_b64 s[48:49], exec, s[18:19]
	s_cbranch_execz .LBB0_793
; %bb.784:                              ;   in Loop: Header=BB0_539 Depth=2
	v_and_b32_e32 v24, 0x7fffffff, v23
	v_mov_b32_e32 v25, v55
	v_cmp_gt_u64_e32 vcc, s[42:43], v[24:25]
	s_and_saveexec_b64 s[50:51], vcc
	s_cbranch_execz .LBB0_792
; %bb.785:                              ;   in Loop: Header=BB0_539 Depth=2
	v_cmp_ne_u32_e32 vcc, 0, v23
	v_mov_b32_e32 v22, 0
	s_and_saveexec_b64 s[52:53], vcc
	s_cbranch_execz .LBB0_791
; %bb.786:                              ;   in Loop: Header=BB0_539 Depth=2
	v_bfe_u32 v22, v23, 23, 8
	v_sub_u32_e32 v24, 0x71, v22
	v_cmp_gt_u32_e32 vcc, s69, v22
	v_cndmask_b32_e32 v24, 0, v24, vcc
	v_cmp_eq_u32_e32 vcc, 0, v22
	v_cndmask_b32_e32 v24, v24, v48, vcc
	v_add_u32_e32 v23, 0xffffff81, v22
	v_add_u32_e32 v22, 21, v24
	v_or_b32_e32 v25, 0x800000, v2
	v_cndmask_b32_e32 v36, v23, v30, vcc
	v_lshlrev_b64 v[22:23], v22, -1
	v_cndmask_b32_e32 v2, v25, v2, vcc
	v_not_b32_e32 v22, v22
	v_and_b32_e32 v28, v2, v22
	v_add_u32_e32 v22, 20, v24
	v_lshrrev_b64 v[2:3], v24, v[2:3]
	v_not_b32_e32 v23, v23
	v_lshlrev_b64 v[32:33], v22, 1
	v_lshrrev_b32_e32 v22, 23, v2
	v_and_b32_e32 v29, 0, v23
	v_add3_u32 v24, v24, v36, v22
	v_bfe_u32 v22, v2, 21, 1
	v_add_u32_e32 v22, -1, v22
	v_cmp_eq_u64_e32 vcc, v[28:29], v[32:33]
	v_cndmask_b32_e32 v22, 0, v22, vcc
	v_add_u32_e32 v22, v22, v2
	v_and_b32_e32 v22, 0x1fffff, v22
	v_add_co_u32_e32 v2, vcc, v22, v2
	v_add_u32_e32 v23, 14, v24
	v_addc_co_u32_e32 v3, vcc, 0, v3, vcc
	v_cmp_ne_u32_e32 vcc, 0, v23
                                        ; implicit-def: $vgpr22
	s_and_saveexec_b64 s[18:19], vcc
	s_xor_b64 s[18:19], exec, s[18:19]
; %bb.787:                              ;   in Loop: Header=BB0_539 Depth=2
	v_add_u32_e32 v22, 15, v24
	v_cmp_lt_u64_e32 vcc, s[44:45], v[2:3]
	v_cndmask_b32_e32 v22, v23, v22, vcc
	v_cndmask_b32_e64 v23, 0, 1, vcc
	v_lshrrev_b64 v[2:3], v23, v[2:3]
; %bb.788:                              ;   in Loop: Header=BB0_539 Depth=2
	s_andn2_saveexec_b64 s[18:19], s[18:19]
; %bb.789:                              ;   in Loop: Header=BB0_539 Depth=2
	v_bfe_u32 v22, v2, 23, 1
; %bb.790:                              ;   in Loop: Header=BB0_539 Depth=2
	s_or_b64 exec, exec, s[18:19]
	v_lshrrev_b64 v[2:3], 21, v[2:3]
	v_cmp_gt_i32_e32 vcc, 32, v22
	v_cndmask_b32_e32 v3, 0, v3, vcc
	v_cndmask_b32_e32 v2, 3, v2, vcc
	v_cmp_eq_u64_e64 s[18:19], 0, v[2:3]
	v_min_i32_e32 v3, 31, v22
	v_cmp_eq_u32_e32 vcc, 0, v22
	v_lshlrev_b32_e32 v3, 2, v3
	v_and_or_b32 v2, v2, 3, v3
	s_and_b64 s[18:19], vcc, s[18:19]
	v_cndmask_b32_e64 v2, v2, 0, s[18:19]
	v_or_b32_e32 v22, v2, v5
.LBB0_791:                              ;   in Loop: Header=BB0_539 Depth=2
	s_or_b64 exec, exec, s[52:53]
.LBB0_792:                              ;   in Loop: Header=BB0_539 Depth=2
	s_or_b64 exec, exec, s[50:51]
                                        ; implicit-def: $vgpr23
                                        ; implicit-def: $vgpr2_vgpr3
.LBB0_793:                              ;   in Loop: Header=BB0_539 Depth=2
	s_andn2_saveexec_b64 s[18:19], s[48:49]
; %bb.794:                              ;   in Loop: Header=BB0_539 Depth=2
	v_or_b32_sdwa v5, v23, s70 dst_sel:DWORD dst_unused:UNUSED_PAD src0_sel:BYTE_3 src1_sel:DWORD
	v_cmp_eq_u64_e32 vcc, 0, v[2:3]
	v_cndmask_b32_e32 v22, v5, v22, vcc
; %bb.795:                              ;   in Loop: Header=BB0_539 Depth=2
	s_or_b64 exec, exec, s[18:19]
	v_lshrrev_b16_e32 v24, 8, v4
	v_lshrrev_b16_e32 v2, 8, v54
	v_cmp_ne_u16_e32 vcc, 0, v24
                                        ; implicit-def: $vgpr25
	s_and_saveexec_b64 s[18:19], s[14:15]
	s_xor_b64 s[48:49], exec, s[18:19]
	s_cbranch_execz .LBB0_813
; %bb.796:                              ;   in Loop: Header=BB0_539 Depth=2
	v_mov_b32_e32 v3, 0
	v_mov_b32_e32 v5, 0
	s_and_saveexec_b64 s[50:51], vcc
	s_cbranch_execz .LBB0_804
; %bb.797:                              ;   in Loop: Header=BB0_539 Depth=2
	v_cmp_ne_u16_e64 s[18:19], s68, v24
	v_bfrev_b32_e32 v5, 1
	s_and_saveexec_b64 s[52:53], s[18:19]
	s_cbranch_execz .LBB0_803
; %bb.798:                              ;   in Loop: Header=BB0_539 Depth=2
	v_and_b32_e32 v5, 0x7c, v24
	v_and_b32_e32 v23, 3, v24
	v_cmp_ne_u32_e64 s[18:19], s66, v5
                                        ; implicit-def: $vgpr5
	s_and_saveexec_b64 s[54:55], s[18:19]
	s_xor_b64 s[54:55], exec, s[54:55]
	s_cbranch_execz .LBB0_800
; %bb.799:                              ;   in Loop: Header=BB0_539 Depth=2
	v_ffbh_u32_e32 v28, v23
	v_min_u32_e32 v28, 32, v28
	v_mov_b32_e32 v25, v55
	v_subrev_u32_e32 v29, 29, v28
	v_bfe_u32 v5, v24, 2, 5
	v_lshlrev_b64 v[24:25], v29, v[24:25]
	v_sub_u32_e32 v25, 30, v28
	v_cmp_eq_u32_e64 s[18:19], 0, v5
	v_and_b32_e32 v24, 3, v24
	v_cndmask_b32_e64 v5, v5, v25, s[18:19]
	v_cndmask_b32_e64 v23, v23, v24, s[18:19]
	v_lshlrev_b32_e32 v24, 16, v4
	v_lshl_add_u32 v5, v5, 23, v47
	v_and_or_b32 v5, v24, s67, v5
	v_lshl_or_b32 v5, v23, 21, v5
                                        ; implicit-def: $vgpr23
.LBB0_800:                              ;   in Loop: Header=BB0_539 Depth=2
	s_andn2_saveexec_b64 s[54:55], s[54:55]
; %bb.801:                              ;   in Loop: Header=BB0_539 Depth=2
	v_cmp_lt_i16_e64 s[18:19], -1, v4
	v_cndmask_b32_e64 v5, v7, v10, s[18:19]
	v_cmp_eq_u32_e64 s[18:19], 0, v23
	v_cndmask_b32_e64 v5, v11, v5, s[18:19]
; %bb.802:                              ;   in Loop: Header=BB0_539 Depth=2
	s_or_b64 exec, exec, s[54:55]
.LBB0_803:                              ;   in Loop: Header=BB0_539 Depth=2
	s_or_b64 exec, exec, s[52:53]
.LBB0_804:                              ;   in Loop: Header=BB0_539 Depth=2
	s_or_b64 exec, exec, s[50:51]
	v_cmp_ne_u16_e64 s[18:19], 0, v2
	s_and_saveexec_b64 s[50:51], s[18:19]
	s_cbranch_execz .LBB0_812
; %bb.805:                              ;   in Loop: Header=BB0_539 Depth=2
	v_cmp_ne_u16_e64 s[18:19], s68, v2
	v_bfrev_b32_e32 v3, 1
	s_and_saveexec_b64 s[52:53], s[18:19]
	s_cbranch_execz .LBB0_811
; %bb.806:                              ;   in Loop: Header=BB0_539 Depth=2
	v_and_b32_e32 v3, 0x7c, v2
	v_and_b32_e32 v23, 3, v2
	v_cmp_ne_u32_e64 s[18:19], s66, v3
                                        ; implicit-def: $vgpr3
	s_and_saveexec_b64 s[54:55], s[18:19]
	s_xor_b64 s[54:55], exec, s[54:55]
	s_cbranch_execz .LBB0_808
; %bb.807:                              ;   in Loop: Header=BB0_539 Depth=2
	v_ffbh_u32_e32 v25, v23
	v_min_u32_e32 v25, 32, v25
	v_mov_b32_e32 v3, v55
	v_subrev_u32_e32 v28, 29, v25
	v_bfe_u32 v24, v2, 2, 5
	v_lshlrev_b64 v[2:3], v28, v[2:3]
	v_sub_u32_e32 v3, 30, v25
	v_cmp_eq_u32_e64 s[18:19], 0, v24
	v_and_b32_e32 v2, 3, v2
	v_cndmask_b32_e64 v3, v24, v3, s[18:19]
	v_cndmask_b32_e64 v2, v23, v2, s[18:19]
	v_lshlrev_b32_e32 v23, 16, v54
	v_lshl_add_u32 v3, v3, 23, v47
	v_and_or_b32 v3, v23, s67, v3
	v_lshl_or_b32 v3, v2, 21, v3
                                        ; implicit-def: $vgpr23
.LBB0_808:                              ;   in Loop: Header=BB0_539 Depth=2
	s_andn2_saveexec_b64 s[54:55], s[54:55]
; %bb.809:                              ;   in Loop: Header=BB0_539 Depth=2
	v_cmp_lt_i16_e64 s[18:19], -1, v54
	v_cndmask_b32_e64 v2, v7, v10, s[18:19]
	v_cmp_eq_u32_e64 s[18:19], 0, v23
	v_cndmask_b32_e64 v3, v11, v2, s[18:19]
; %bb.810:                              ;   in Loop: Header=BB0_539 Depth=2
	s_or_b64 exec, exec, s[54:55]
.LBB0_811:                              ;   in Loop: Header=BB0_539 Depth=2
	s_or_b64 exec, exec, s[52:53]
.LBB0_812:                              ;   in Loop: Header=BB0_539 Depth=2
	s_or_b64 exec, exec, s[50:51]
	v_max_f32_e32 v2, v3, v3
	v_max_f32_e32 v3, v5, v5
	;; [unrolled: 1-line block ×3, first 2 shown]
                                        ; implicit-def: $vgpr2
                                        ; implicit-def: $vgpr24
.LBB0_813:                              ;   in Loop: Header=BB0_539 Depth=2
	s_andn2_saveexec_b64 s[18:19], s[48:49]
	s_cbranch_execz .LBB0_831
; %bb.814:                              ;   in Loop: Header=BB0_539 Depth=2
	v_mov_b32_e32 v3, 0
	v_mov_b32_e32 v5, 0
	s_and_saveexec_b64 s[48:49], vcc
	s_cbranch_execz .LBB0_822
; %bb.815:                              ;   in Loop: Header=BB0_539 Depth=2
	v_cmp_ne_u16_e32 vcc, s68, v24
	v_bfrev_b32_e32 v5, 1
	s_and_saveexec_b64 s[50:51], vcc
	s_cbranch_execz .LBB0_821
; %bb.816:                              ;   in Loop: Header=BB0_539 Depth=2
	v_and_b32_e32 v5, 0x7c, v24
	v_and_b32_e32 v23, 3, v24
	v_cmp_ne_u32_e32 vcc, s66, v5
                                        ; implicit-def: $vgpr5
	s_and_saveexec_b64 s[52:53], vcc
	s_xor_b64 s[52:53], exec, s[52:53]
	s_cbranch_execz .LBB0_818
; %bb.817:                              ;   in Loop: Header=BB0_539 Depth=2
	v_ffbh_u32_e32 v28, v23
	v_min_u32_e32 v28, 32, v28
	v_mov_b32_e32 v25, v55
	v_subrev_u32_e32 v29, 29, v28
	v_bfe_u32 v5, v24, 2, 5
	v_lshlrev_b64 v[24:25], v29, v[24:25]
	v_sub_u32_e32 v25, 30, v28
	v_cmp_eq_u32_e32 vcc, 0, v5
	v_and_b32_e32 v24, 3, v24
	v_cndmask_b32_e32 v5, v5, v25, vcc
	v_cndmask_b32_e32 v23, v23, v24, vcc
	v_lshlrev_b32_e32 v24, 16, v4
	v_lshl_add_u32 v5, v5, 23, v47
	v_and_or_b32 v5, v24, s67, v5
	v_lshl_or_b32 v5, v23, 21, v5
                                        ; implicit-def: $vgpr23
.LBB0_818:                              ;   in Loop: Header=BB0_539 Depth=2
	s_andn2_saveexec_b64 s[52:53], s[52:53]
; %bb.819:                              ;   in Loop: Header=BB0_539 Depth=2
	v_cmp_lt_i16_e32 vcc, -1, v4
	v_cndmask_b32_e32 v5, v7, v10, vcc
	v_cmp_eq_u32_e32 vcc, 0, v23
	v_cndmask_b32_e32 v5, v11, v5, vcc
; %bb.820:                              ;   in Loop: Header=BB0_539 Depth=2
	s_or_b64 exec, exec, s[52:53]
.LBB0_821:                              ;   in Loop: Header=BB0_539 Depth=2
	s_or_b64 exec, exec, s[50:51]
.LBB0_822:                              ;   in Loop: Header=BB0_539 Depth=2
	s_or_b64 exec, exec, s[48:49]
	v_cmp_ne_u16_e32 vcc, 0, v2
	s_and_saveexec_b64 s[48:49], vcc
	s_cbranch_execz .LBB0_830
; %bb.823:                              ;   in Loop: Header=BB0_539 Depth=2
	v_cmp_ne_u16_e32 vcc, s68, v2
	v_bfrev_b32_e32 v3, 1
	s_and_saveexec_b64 s[50:51], vcc
	s_cbranch_execz .LBB0_829
; %bb.824:                              ;   in Loop: Header=BB0_539 Depth=2
	v_and_b32_e32 v3, 0x7c, v2
	v_and_b32_e32 v23, 3, v2
	v_cmp_ne_u32_e32 vcc, s66, v3
                                        ; implicit-def: $vgpr3
	s_and_saveexec_b64 s[52:53], vcc
	s_xor_b64 s[52:53], exec, s[52:53]
	s_cbranch_execz .LBB0_826
; %bb.825:                              ;   in Loop: Header=BB0_539 Depth=2
	v_ffbh_u32_e32 v25, v23
	v_min_u32_e32 v25, 32, v25
	v_mov_b32_e32 v3, v55
	v_subrev_u32_e32 v28, 29, v25
	v_bfe_u32 v24, v2, 2, 5
	v_lshlrev_b64 v[2:3], v28, v[2:3]
	v_sub_u32_e32 v3, 30, v25
	v_cmp_eq_u32_e32 vcc, 0, v24
	v_and_b32_e32 v2, 3, v2
	v_cndmask_b32_e32 v3, v24, v3, vcc
	v_cndmask_b32_e32 v2, v23, v2, vcc
	v_lshlrev_b32_e32 v23, 16, v54
	v_lshl_add_u32 v3, v3, 23, v47
	v_and_or_b32 v3, v23, s67, v3
	v_lshl_or_b32 v3, v2, 21, v3
                                        ; implicit-def: $vgpr23
.LBB0_826:                              ;   in Loop: Header=BB0_539 Depth=2
	s_andn2_saveexec_b64 s[52:53], s[52:53]
; %bb.827:                              ;   in Loop: Header=BB0_539 Depth=2
	v_cmp_lt_i16_e32 vcc, -1, v54
	v_cndmask_b32_e32 v2, v7, v10, vcc
	v_cmp_eq_u32_e32 vcc, 0, v23
	v_cndmask_b32_e32 v3, v11, v2, vcc
; %bb.828:                              ;   in Loop: Header=BB0_539 Depth=2
	s_or_b64 exec, exec, s[52:53]
.LBB0_829:                              ;   in Loop: Header=BB0_539 Depth=2
	s_or_b64 exec, exec, s[50:51]
.LBB0_830:                              ;   in Loop: Header=BB0_539 Depth=2
	s_or_b64 exec, exec, s[48:49]
	v_max_f32_e32 v2, v3, v3
	v_max_f32_e32 v3, v5, v5
	v_min_f32_e32 v25, v3, v2
.LBB0_831:                              ;   in Loop: Header=BB0_539 Depth=2
	s_or_b64 exec, exec, s[18:19]
	v_and_b32_sdwa v5, v25, s68 dst_sel:DWORD dst_unused:UNUSED_PAD src0_sel:BYTE_3 src1_sel:DWORD
	v_and_b32_e32 v28, 0x7f800000, v25
	v_mov_b32_e32 v29, v55
	v_and_b32_e32 v2, 0x7fffff, v25
	v_mov_b32_e32 v3, v55
	v_or_b32_e32 v23, 0x7b, v5
	v_cmp_ne_u64_e32 vcc, s[40:41], v[28:29]
	s_and_saveexec_b64 s[18:19], vcc
	s_xor_b64 s[48:49], exec, s[18:19]
	s_cbranch_execz .LBB0_841
; %bb.832:                              ;   in Loop: Header=BB0_539 Depth=2
	v_and_b32_e32 v28, 0x7fffffff, v25
	v_mov_b32_e32 v29, v55
	v_cmp_gt_u64_e32 vcc, s[42:43], v[28:29]
	s_and_saveexec_b64 s[50:51], vcc
	s_cbranch_execz .LBB0_840
; %bb.833:                              ;   in Loop: Header=BB0_539 Depth=2
	v_cmp_ne_u32_e32 vcc, 0, v25
	v_mov_b32_e32 v23, 0
	s_and_saveexec_b64 s[52:53], vcc
	s_cbranch_execz .LBB0_839
; %bb.834:                              ;   in Loop: Header=BB0_539 Depth=2
	v_bfe_u32 v23, v25, 23, 8
	v_sub_u32_e32 v25, 0x71, v23
	v_cmp_gt_u32_e32 vcc, s69, v23
	v_cndmask_b32_e32 v25, 0, v25, vcc
	v_cmp_eq_u32_e32 vcc, 0, v23
	v_add_u32_e32 v24, 0xffffff81, v23
	v_cndmask_b32_e32 v36, v25, v48, vcc
	v_cndmask_b32_e32 v23, v24, v30, vcc
	v_add_u32_e32 v24, 21, v36
	v_or_b32_e32 v28, 0x800000, v2
	v_lshlrev_b64 v[24:25], v24, -1
	v_cndmask_b32_e32 v2, v28, v2, vcc
	v_not_b32_e32 v24, v24
	v_and_b32_e32 v28, v2, v24
	v_add_u32_e32 v24, 20, v36
	v_lshrrev_b64 v[2:3], v36, v[2:3]
	v_not_b32_e32 v25, v25
	v_lshlrev_b64 v[32:33], v24, 1
	v_lshrrev_b32_e32 v24, 23, v2
	v_and_b32_e32 v29, 0, v25
	v_add3_u32 v25, v36, v23, v24
	v_bfe_u32 v23, v2, 21, 1
	v_add_u32_e32 v23, -1, v23
	v_cmp_eq_u64_e32 vcc, v[28:29], v[32:33]
	v_cndmask_b32_e32 v23, 0, v23, vcc
	v_add_u32_e32 v23, v23, v2
	v_and_b32_e32 v23, 0x1fffff, v23
	v_add_co_u32_e32 v2, vcc, v23, v2
	v_add_u32_e32 v24, 14, v25
	v_addc_co_u32_e32 v3, vcc, 0, v3, vcc
	v_cmp_ne_u32_e32 vcc, 0, v24
                                        ; implicit-def: $vgpr23
	s_and_saveexec_b64 s[18:19], vcc
	s_xor_b64 s[18:19], exec, s[18:19]
; %bb.835:                              ;   in Loop: Header=BB0_539 Depth=2
	v_add_u32_e32 v23, 15, v25
	v_cmp_lt_u64_e32 vcc, s[44:45], v[2:3]
	v_cndmask_b32_e32 v23, v24, v23, vcc
	v_cndmask_b32_e64 v24, 0, 1, vcc
	v_lshrrev_b64 v[2:3], v24, v[2:3]
; %bb.836:                              ;   in Loop: Header=BB0_539 Depth=2
	s_andn2_saveexec_b64 s[18:19], s[18:19]
; %bb.837:                              ;   in Loop: Header=BB0_539 Depth=2
	v_bfe_u32 v23, v2, 23, 1
; %bb.838:                              ;   in Loop: Header=BB0_539 Depth=2
	s_or_b64 exec, exec, s[18:19]
	v_lshrrev_b64 v[2:3], 21, v[2:3]
	v_cmp_gt_i32_e32 vcc, 32, v23
	v_cndmask_b32_e32 v3, 0, v3, vcc
	v_cndmask_b32_e32 v2, 3, v2, vcc
	v_cmp_eq_u64_e64 s[18:19], 0, v[2:3]
	v_min_i32_e32 v3, 31, v23
	v_cmp_eq_u32_e32 vcc, 0, v23
	v_lshlrev_b32_e32 v3, 2, v3
	v_and_or_b32 v2, v2, 3, v3
	s_and_b64 s[18:19], vcc, s[18:19]
	v_cndmask_b32_e64 v2, v2, 0, s[18:19]
	v_or_b32_e32 v23, v2, v5
.LBB0_839:                              ;   in Loop: Header=BB0_539 Depth=2
	s_or_b64 exec, exec, s[52:53]
.LBB0_840:                              ;   in Loop: Header=BB0_539 Depth=2
	s_or_b64 exec, exec, s[50:51]
                                        ; implicit-def: $vgpr25
                                        ; implicit-def: $vgpr2_vgpr3
.LBB0_841:                              ;   in Loop: Header=BB0_539 Depth=2
	s_andn2_saveexec_b64 s[18:19], s[48:49]
; %bb.842:                              ;   in Loop: Header=BB0_539 Depth=2
	v_or_b32_sdwa v5, v25, s70 dst_sel:DWORD dst_unused:UNUSED_PAD src0_sel:BYTE_3 src1_sel:DWORD
	v_cmp_eq_u64_e32 vcc, 0, v[2:3]
	v_cndmask_b32_e32 v23, v5, v23, vcc
; %bb.843:                              ;   in Loop: Header=BB0_539 Depth=2
	s_or_b64 exec, exec, s[18:19]
	v_lshrrev_b32_e32 v28, 16, v4
	v_lshrrev_b32_e32 v2, 16, v54
	v_cmp_ne_u16_sdwa s[18:19], v28, v55 src0_sel:BYTE_0 src1_sel:DWORD
                                        ; implicit-def: $vgpr24
	s_and_saveexec_b64 vcc, s[14:15]
	s_xor_b64 s[48:49], exec, vcc
	s_cbranch_execz .LBB0_861
; %bb.844:                              ;   in Loop: Header=BB0_539 Depth=2
	v_mov_b32_e32 v5, 0
	v_mov_b32_e32 v3, 0
	s_and_saveexec_b64 s[50:51], s[18:19]
	s_cbranch_execz .LBB0_852
; %bb.845:                              ;   in Loop: Header=BB0_539 Depth=2
	v_cmp_ne_u16_sdwa vcc, v28, s68 src0_sel:BYTE_0 src1_sel:DWORD
	v_bfrev_b32_e32 v3, 1
	s_and_saveexec_b64 s[52:53], vcc
	s_cbranch_execz .LBB0_851
; %bb.846:                              ;   in Loop: Header=BB0_539 Depth=2
	v_and_b32_e32 v3, 0x7c0000, v4
	v_bfe_u32 v24, v4, 16, 2
	v_cmp_ne_u32_e32 vcc, s71, v3
                                        ; implicit-def: $vgpr3
	s_and_saveexec_b64 s[54:55], vcc
	s_xor_b64 s[54:55], exec, s[54:55]
	s_cbranch_execz .LBB0_848
; %bb.847:                              ;   in Loop: Header=BB0_539 Depth=2
	v_ffbh_u32_e32 v25, v24
	v_bfe_u32 v3, v4, 18, 5
	v_min_u32_e32 v25, 32, v25
	v_subrev_u32_e32 v29, 29, v25
	v_sub_u32_e32 v25, 30, v25
	v_cmp_eq_u32_e32 vcc, 0, v3
	v_lshlrev_b64 v[32:33], v29, v[28:29]
	v_cndmask_b32_e32 v3, v3, v25, vcc
	v_and_b32_e32 v29, 3, v32
	v_lshlrev_b32_e32 v25, 24, v28
	v_lshl_add_u32 v3, v3, 23, v47
	v_cndmask_b32_e32 v24, v24, v29, vcc
	v_and_or_b32 v3, v25, s67, v3
	v_lshl_or_b32 v3, v24, 21, v3
                                        ; implicit-def: $vgpr24
                                        ; implicit-def: $vgpr28
.LBB0_848:                              ;   in Loop: Header=BB0_539 Depth=2
	s_andn2_saveexec_b64 s[54:55], s[54:55]
; %bb.849:                              ;   in Loop: Header=BB0_539 Depth=2
	v_cmp_gt_i16_sdwa vcc, sext(v28), v6 src0_sel:BYTE_0 src1_sel:DWORD
	v_cndmask_b32_e32 v3, v7, v10, vcc
	v_cmp_eq_u32_e32 vcc, 0, v24
	v_cndmask_b32_e32 v3, v11, v3, vcc
; %bb.850:                              ;   in Loop: Header=BB0_539 Depth=2
	s_or_b64 exec, exec, s[54:55]
.LBB0_851:                              ;   in Loop: Header=BB0_539 Depth=2
	s_or_b64 exec, exec, s[52:53]
.LBB0_852:                              ;   in Loop: Header=BB0_539 Depth=2
	s_or_b64 exec, exec, s[50:51]
	v_and_b32_sdwa v24, v54, s64 dst_sel:DWORD dst_unused:UNUSED_PAD src0_sel:WORD_1 src1_sel:DWORD
	v_cmp_ne_u16_e32 vcc, 0, v24
	s_and_saveexec_b64 s[50:51], vcc
	s_cbranch_execz .LBB0_860
; %bb.853:                              ;   in Loop: Header=BB0_539 Depth=2
	v_cmp_ne_u16_e32 vcc, s68, v24
	v_bfrev_b32_e32 v5, 1
	s_and_saveexec_b64 s[52:53], vcc
	s_cbranch_execz .LBB0_859
; %bb.854:                              ;   in Loop: Header=BB0_539 Depth=2
	v_and_b32_e32 v5, 0x7c0000, v54
	v_bfe_u32 v24, v54, 16, 2
	v_cmp_ne_u32_e32 vcc, s71, v5
                                        ; implicit-def: $vgpr5
	s_and_saveexec_b64 s[54:55], vcc
	s_xor_b64 s[54:55], exec, s[54:55]
	s_cbranch_execz .LBB0_856
; %bb.855:                              ;   in Loop: Header=BB0_539 Depth=2
	v_ffbh_u32_e32 v25, v24
	v_bfe_u32 v5, v54, 18, 5
	v_min_u32_e32 v25, 32, v25
	v_subrev_u32_e32 v28, 29, v25
	v_sub_u32_e32 v25, 30, v25
	v_cmp_eq_u32_e32 vcc, 0, v5
	v_lshlrev_b64 v[28:29], v28, v[2:3]
	v_cndmask_b32_e32 v5, v5, v25, vcc
	v_and_b32_e32 v28, 3, v28
	v_lshlrev_b32_e32 v2, 24, v2
	v_lshl_add_u32 v5, v5, 23, v47
	v_cndmask_b32_e32 v24, v24, v28, vcc
	v_and_or_b32 v2, v2, s67, v5
	v_lshl_or_b32 v5, v24, 21, v2
                                        ; implicit-def: $vgpr24
                                        ; implicit-def: $vgpr2
.LBB0_856:                              ;   in Loop: Header=BB0_539 Depth=2
	s_andn2_saveexec_b64 s[54:55], s[54:55]
; %bb.857:                              ;   in Loop: Header=BB0_539 Depth=2
	v_cmp_gt_i16_sdwa vcc, sext(v2), v6 src0_sel:BYTE_0 src1_sel:DWORD
	v_cndmask_b32_e32 v2, v7, v10, vcc
	v_cmp_eq_u32_e32 vcc, 0, v24
	v_cndmask_b32_e32 v5, v11, v2, vcc
; %bb.858:                              ;   in Loop: Header=BB0_539 Depth=2
	s_or_b64 exec, exec, s[54:55]
.LBB0_859:                              ;   in Loop: Header=BB0_539 Depth=2
	s_or_b64 exec, exec, s[52:53]
.LBB0_860:                              ;   in Loop: Header=BB0_539 Depth=2
	s_or_b64 exec, exec, s[50:51]
	v_max_f32_e32 v2, v5, v5
	v_max_f32_e32 v3, v3, v3
	;; [unrolled: 1-line block ×3, first 2 shown]
                                        ; implicit-def: $vgpr28
                                        ; implicit-def: $vgpr2
.LBB0_861:                              ;   in Loop: Header=BB0_539 Depth=2
	s_andn2_saveexec_b64 s[48:49], s[48:49]
	s_cbranch_execz .LBB0_879
; %bb.862:                              ;   in Loop: Header=BB0_539 Depth=2
	v_mov_b32_e32 v5, 0
	v_mov_b32_e32 v3, 0
	s_and_saveexec_b64 s[50:51], s[18:19]
	s_cbranch_execz .LBB0_870
; %bb.863:                              ;   in Loop: Header=BB0_539 Depth=2
	v_cmp_ne_u16_sdwa vcc, v28, s68 src0_sel:BYTE_0 src1_sel:DWORD
	v_bfrev_b32_e32 v3, 1
	s_and_saveexec_b64 s[18:19], vcc
	s_cbranch_execz .LBB0_869
; %bb.864:                              ;   in Loop: Header=BB0_539 Depth=2
	v_and_b32_e32 v3, 0x7c0000, v4
	v_bfe_u32 v24, v4, 16, 2
	v_cmp_ne_u32_e32 vcc, s71, v3
                                        ; implicit-def: $vgpr3
	s_and_saveexec_b64 s[52:53], vcc
	s_xor_b64 s[52:53], exec, s[52:53]
	s_cbranch_execz .LBB0_866
; %bb.865:                              ;   in Loop: Header=BB0_539 Depth=2
	v_ffbh_u32_e32 v25, v24
	v_bfe_u32 v3, v4, 18, 5
	v_min_u32_e32 v25, 32, v25
	v_subrev_u32_e32 v29, 29, v25
	v_sub_u32_e32 v25, 30, v25
	v_cmp_eq_u32_e32 vcc, 0, v3
	v_lshlrev_b64 v[32:33], v29, v[28:29]
	v_cndmask_b32_e32 v3, v3, v25, vcc
	v_and_b32_e32 v29, 3, v32
	v_lshlrev_b32_e32 v25, 24, v28
	v_lshl_add_u32 v3, v3, 23, v47
	v_cndmask_b32_e32 v24, v24, v29, vcc
	v_and_or_b32 v3, v25, s67, v3
	v_lshl_or_b32 v3, v24, 21, v3
                                        ; implicit-def: $vgpr24
                                        ; implicit-def: $vgpr28
.LBB0_866:                              ;   in Loop: Header=BB0_539 Depth=2
	s_andn2_saveexec_b64 s[52:53], s[52:53]
; %bb.867:                              ;   in Loop: Header=BB0_539 Depth=2
	v_cmp_gt_i16_sdwa vcc, sext(v28), v6 src0_sel:BYTE_0 src1_sel:DWORD
	v_cndmask_b32_e32 v3, v7, v10, vcc
	v_cmp_eq_u32_e32 vcc, 0, v24
	v_cndmask_b32_e32 v3, v11, v3, vcc
; %bb.868:                              ;   in Loop: Header=BB0_539 Depth=2
	s_or_b64 exec, exec, s[52:53]
.LBB0_869:                              ;   in Loop: Header=BB0_539 Depth=2
	s_or_b64 exec, exec, s[18:19]
.LBB0_870:                              ;   in Loop: Header=BB0_539 Depth=2
	s_or_b64 exec, exec, s[50:51]
	v_and_b32_sdwa v24, v54, s64 dst_sel:DWORD dst_unused:UNUSED_PAD src0_sel:WORD_1 src1_sel:DWORD
	v_cmp_ne_u16_e32 vcc, 0, v24
	s_and_saveexec_b64 s[18:19], vcc
	s_cbranch_execz .LBB0_878
; %bb.871:                              ;   in Loop: Header=BB0_539 Depth=2
	v_cmp_ne_u16_e32 vcc, s68, v24
	v_bfrev_b32_e32 v5, 1
	s_and_saveexec_b64 s[50:51], vcc
	s_cbranch_execz .LBB0_877
; %bb.872:                              ;   in Loop: Header=BB0_539 Depth=2
	v_and_b32_e32 v5, 0x7c0000, v54
	v_bfe_u32 v24, v54, 16, 2
	v_cmp_ne_u32_e32 vcc, s71, v5
                                        ; implicit-def: $vgpr5
	s_and_saveexec_b64 s[52:53], vcc
	s_xor_b64 s[52:53], exec, s[52:53]
	s_cbranch_execz .LBB0_874
; %bb.873:                              ;   in Loop: Header=BB0_539 Depth=2
	v_ffbh_u32_e32 v25, v24
	v_bfe_u32 v5, v54, 18, 5
	v_min_u32_e32 v25, 32, v25
	v_subrev_u32_e32 v28, 29, v25
	v_sub_u32_e32 v25, 30, v25
	v_cmp_eq_u32_e32 vcc, 0, v5
	v_lshlrev_b64 v[28:29], v28, v[2:3]
	v_cndmask_b32_e32 v5, v5, v25, vcc
	v_and_b32_e32 v28, 3, v28
	v_lshlrev_b32_e32 v2, 24, v2
	v_lshl_add_u32 v5, v5, 23, v47
	v_cndmask_b32_e32 v24, v24, v28, vcc
	v_and_or_b32 v2, v2, s67, v5
	v_lshl_or_b32 v5, v24, 21, v2
                                        ; implicit-def: $vgpr24
                                        ; implicit-def: $vgpr2
.LBB0_874:                              ;   in Loop: Header=BB0_539 Depth=2
	s_andn2_saveexec_b64 s[52:53], s[52:53]
; %bb.875:                              ;   in Loop: Header=BB0_539 Depth=2
	v_cmp_gt_i16_sdwa vcc, sext(v2), v6 src0_sel:BYTE_0 src1_sel:DWORD
	v_cndmask_b32_e32 v2, v7, v10, vcc
	v_cmp_eq_u32_e32 vcc, 0, v24
	v_cndmask_b32_e32 v5, v11, v2, vcc
; %bb.876:                              ;   in Loop: Header=BB0_539 Depth=2
	s_or_b64 exec, exec, s[52:53]
.LBB0_877:                              ;   in Loop: Header=BB0_539 Depth=2
	s_or_b64 exec, exec, s[50:51]
.LBB0_878:                              ;   in Loop: Header=BB0_539 Depth=2
	s_or_b64 exec, exec, s[18:19]
	v_max_f32_e32 v2, v5, v5
	v_max_f32_e32 v3, v3, v3
	v_min_f32_e32 v24, v3, v2
.LBB0_879:                              ;   in Loop: Header=BB0_539 Depth=2
	s_or_b64 exec, exec, s[48:49]
	v_and_b32_sdwa v5, v24, s68 dst_sel:DWORD dst_unused:UNUSED_PAD src0_sel:BYTE_3 src1_sel:DWORD
	v_and_b32_e32 v28, 0x7f800000, v24
	v_mov_b32_e32 v29, v55
	v_and_b32_e32 v2, 0x7fffff, v24
	v_mov_b32_e32 v3, v55
	v_or_b32_e32 v25, 0x7b, v5
	v_cmp_ne_u64_e32 vcc, s[40:41], v[28:29]
	s_and_saveexec_b64 s[18:19], vcc
	s_xor_b64 s[48:49], exec, s[18:19]
	s_cbranch_execz .LBB0_889
; %bb.880:                              ;   in Loop: Header=BB0_539 Depth=2
	v_and_b32_e32 v28, 0x7fffffff, v24
	v_mov_b32_e32 v29, v55
	v_cmp_gt_u64_e32 vcc, s[42:43], v[28:29]
	s_and_saveexec_b64 s[50:51], vcc
	s_cbranch_execz .LBB0_888
; %bb.881:                              ;   in Loop: Header=BB0_539 Depth=2
	v_cmp_ne_u32_e32 vcc, 0, v24
	v_mov_b32_e32 v25, 0
	s_and_saveexec_b64 s[52:53], vcc
	s_cbranch_execz .LBB0_887
; %bb.882:                              ;   in Loop: Header=BB0_539 Depth=2
	v_bfe_u32 v24, v24, 23, 8
	v_sub_u32_e32 v28, 0x71, v24
	v_cmp_gt_u32_e32 vcc, s69, v24
	v_cndmask_b32_e32 v28, 0, v28, vcc
	v_cmp_eq_u32_e32 vcc, 0, v24
	v_cndmask_b32_e32 v28, v28, v48, vcc
	v_add_u32_e32 v25, 0xffffff81, v24
	v_add_u32_e32 v24, 21, v28
	v_or_b32_e32 v29, 0x800000, v2
	v_cndmask_b32_e32 v50, v25, v30, vcc
	v_lshlrev_b64 v[24:25], v24, -1
	v_cndmask_b32_e32 v2, v29, v2, vcc
	v_not_b32_e32 v24, v24
	v_and_b32_e32 v32, v2, v24
	v_add_u32_e32 v24, 20, v28
	v_lshrrev_b64 v[2:3], v28, v[2:3]
	v_not_b32_e32 v25, v25
	v_lshlrev_b64 v[36:37], v24, 1
	v_lshrrev_b32_e32 v24, 23, v2
	v_and_b32_e32 v33, 0, v25
	v_add3_u32 v28, v28, v50, v24
	v_bfe_u32 v24, v2, 21, 1
	v_add_u32_e32 v24, -1, v24
	v_cmp_eq_u64_e32 vcc, v[32:33], v[36:37]
	v_cndmask_b32_e32 v24, 0, v24, vcc
	v_add_u32_e32 v24, v24, v2
	v_and_b32_e32 v24, 0x1fffff, v24
	v_add_co_u32_e32 v2, vcc, v24, v2
	v_add_u32_e32 v25, 14, v28
	v_addc_co_u32_e32 v3, vcc, 0, v3, vcc
	v_cmp_ne_u32_e32 vcc, 0, v25
                                        ; implicit-def: $vgpr24
	s_and_saveexec_b64 s[18:19], vcc
	s_xor_b64 s[18:19], exec, s[18:19]
; %bb.883:                              ;   in Loop: Header=BB0_539 Depth=2
	v_add_u32_e32 v24, 15, v28
	v_cmp_lt_u64_e32 vcc, s[44:45], v[2:3]
	v_cndmask_b32_e32 v24, v25, v24, vcc
	v_cndmask_b32_e64 v25, 0, 1, vcc
	v_lshrrev_b64 v[2:3], v25, v[2:3]
; %bb.884:                              ;   in Loop: Header=BB0_539 Depth=2
	s_andn2_saveexec_b64 s[18:19], s[18:19]
; %bb.885:                              ;   in Loop: Header=BB0_539 Depth=2
	v_bfe_u32 v24, v2, 23, 1
; %bb.886:                              ;   in Loop: Header=BB0_539 Depth=2
	s_or_b64 exec, exec, s[18:19]
	v_lshrrev_b64 v[2:3], 21, v[2:3]
	v_cmp_gt_i32_e32 vcc, 32, v24
	v_cndmask_b32_e32 v3, 0, v3, vcc
	v_cndmask_b32_e32 v2, 3, v2, vcc
	v_cmp_eq_u64_e64 s[18:19], 0, v[2:3]
	v_min_i32_e32 v3, 31, v24
	v_cmp_eq_u32_e32 vcc, 0, v24
	v_lshlrev_b32_e32 v3, 2, v3
	v_and_or_b32 v2, v2, 3, v3
	s_and_b64 s[18:19], vcc, s[18:19]
	v_cndmask_b32_e64 v2, v2, 0, s[18:19]
	v_or_b32_e32 v25, v2, v5
.LBB0_887:                              ;   in Loop: Header=BB0_539 Depth=2
	s_or_b64 exec, exec, s[52:53]
.LBB0_888:                              ;   in Loop: Header=BB0_539 Depth=2
	s_or_b64 exec, exec, s[50:51]
                                        ; implicit-def: $vgpr24
                                        ; implicit-def: $vgpr2_vgpr3
.LBB0_889:                              ;   in Loop: Header=BB0_539 Depth=2
	s_andn2_saveexec_b64 s[18:19], s[48:49]
; %bb.890:                              ;   in Loop: Header=BB0_539 Depth=2
	v_or_b32_sdwa v5, v24, s70 dst_sel:DWORD dst_unused:UNUSED_PAD src0_sel:BYTE_3 src1_sel:DWORD
	v_cmp_eq_u64_e32 vcc, 0, v[2:3]
	v_cndmask_b32_e32 v25, v5, v25, vcc
; %bb.891:                              ;   in Loop: Header=BB0_539 Depth=2
	s_or_b64 exec, exec, s[18:19]
	v_mov_b32_e32 v40, v55
	v_mov_b32_e32 v41, v4
	v_lshrrev_b32_e32 v24, 24, v4
	v_lshrrev_b32_e32 v28, 24, v54
	v_mov_b32_e32 v2, v55
	v_mov_b32_e32 v3, v54
	v_cmp_lt_u64_e32 vcc, s[38:39], v[40:41]
                                        ; implicit-def: $vgpr29
	s_and_saveexec_b64 s[18:19], s[14:15]
	s_xor_b64 s[48:49], exec, s[18:19]
	s_cbranch_execz .LBB0_909
; %bb.892:                              ;   in Loop: Header=BB0_539 Depth=2
	v_mov_b32_e32 v29, 0
	v_mov_b32_e32 v5, 0
	s_and_saveexec_b64 s[50:51], vcc
	s_cbranch_execz .LBB0_900
; %bb.893:                              ;   in Loop: Header=BB0_539 Depth=2
	v_cmp_ne_u32_e64 s[18:19], s68, v24
	v_bfrev_b32_e32 v5, 1
	s_and_saveexec_b64 s[52:53], s[18:19]
	s_cbranch_execz .LBB0_899
; %bb.894:                              ;   in Loop: Header=BB0_539 Depth=2
	v_and_b32_e32 v5, 0x7c000000, v4
	v_bfe_u32 v32, v4, 24, 2
	v_cmp_ne_u32_e64 s[18:19], s72, v5
                                        ; implicit-def: $vgpr5
	s_and_saveexec_b64 s[54:55], s[18:19]
	s_xor_b64 s[54:55], exec, s[54:55]
	s_cbranch_execz .LBB0_896
; %bb.895:                              ;   in Loop: Header=BB0_539 Depth=2
	v_ffbh_u32_e32 v33, v32
	v_min_u32_e32 v33, 32, v33
	v_bfe_u32 v5, v4, 26, 5
	v_subrev_u32_e32 v36, 29, v33
	v_lshlrev_b64 v[36:37], v36, v[24:25]
	v_sub_u32_e32 v24, 30, v33
	v_cmp_eq_u32_e64 s[18:19], 0, v5
	v_cndmask_b32_e64 v5, v5, v24, s[18:19]
	v_and_b32_e32 v33, 3, v36
	v_lshl_add_u32 v5, v5, 23, v47
	v_cndmask_b32_e64 v24, v32, v33, s[18:19]
	v_and_or_b32 v4, v4, s67, v5
	v_lshl_or_b32 v5, v24, 21, v4
                                        ; implicit-def: $vgpr32
                                        ; implicit-def: $vgpr40_vgpr41
.LBB0_896:                              ;   in Loop: Header=BB0_539 Depth=2
	s_andn2_saveexec_b64 s[54:55], s[54:55]
; %bb.897:                              ;   in Loop: Header=BB0_539 Depth=2
	v_cmp_lt_i64_e64 s[18:19], -1, v[40:41]
	v_cndmask_b32_e64 v4, v7, v10, s[18:19]
	v_cmp_eq_u32_e64 s[18:19], 0, v32
	v_cndmask_b32_e64 v5, v11, v4, s[18:19]
; %bb.898:                              ;   in Loop: Header=BB0_539 Depth=2
	s_or_b64 exec, exec, s[54:55]
.LBB0_899:                              ;   in Loop: Header=BB0_539 Depth=2
	s_or_b64 exec, exec, s[52:53]
.LBB0_900:                              ;   in Loop: Header=BB0_539 Depth=2
	s_or_b64 exec, exec, s[50:51]
	v_cmp_lt_u32_e64 s[18:19], s39, v54
	s_and_saveexec_b64 s[50:51], s[18:19]
	s_cbranch_execz .LBB0_908
; %bb.901:                              ;   in Loop: Header=BB0_539 Depth=2
	v_cmp_ne_u32_e64 s[18:19], s68, v28
	v_bfrev_b32_e32 v29, 1
	s_and_saveexec_b64 s[52:53], s[18:19]
	s_cbranch_execz .LBB0_907
; %bb.902:                              ;   in Loop: Header=BB0_539 Depth=2
	v_and_b32_e32 v24, 0x7c000000, v54
	v_bfe_u32 v4, v54, 24, 2
	v_cmp_ne_u32_e64 s[18:19], s72, v24
                                        ; implicit-def: $vgpr29
	s_and_saveexec_b64 s[54:55], s[18:19]
	s_xor_b64 s[54:55], exec, s[54:55]
	s_cbranch_execz .LBB0_904
; %bb.903:                              ;   in Loop: Header=BB0_539 Depth=2
	v_ffbh_u32_e32 v2, v4
	v_min_u32_e32 v29, 32, v2
	v_subrev_u32_e32 v2, 29, v29
	v_bfe_u32 v24, v54, 26, 5
	v_lshlrev_b64 v[2:3], v2, v[28:29]
	v_sub_u32_e32 v3, 30, v29
	v_cmp_eq_u32_e64 s[18:19], 0, v24
	v_cndmask_b32_e64 v3, v24, v3, s[18:19]
	v_and_b32_e32 v2, 3, v2
	v_lshl_add_u32 v3, v3, 23, v47
	v_cndmask_b32_e64 v2, v4, v2, s[18:19]
	v_and_or_b32 v3, v54, s67, v3
	v_lshl_or_b32 v29, v2, 21, v3
                                        ; implicit-def: $vgpr4
                                        ; implicit-def: $vgpr2_vgpr3
.LBB0_904:                              ;   in Loop: Header=BB0_539 Depth=2
	s_andn2_saveexec_b64 s[54:55], s[54:55]
; %bb.905:                              ;   in Loop: Header=BB0_539 Depth=2
	v_cmp_lt_i64_e64 s[18:19], -1, v[2:3]
	v_cndmask_b32_e64 v2, v7, v10, s[18:19]
	v_cmp_eq_u32_e64 s[18:19], 0, v4
	v_cndmask_b32_e64 v29, v11, v2, s[18:19]
; %bb.906:                              ;   in Loop: Header=BB0_539 Depth=2
	s_or_b64 exec, exec, s[54:55]
.LBB0_907:                              ;   in Loop: Header=BB0_539 Depth=2
	s_or_b64 exec, exec, s[52:53]
.LBB0_908:                              ;   in Loop: Header=BB0_539 Depth=2
	s_or_b64 exec, exec, s[50:51]
	v_max_f32_e32 v2, v29, v29
	v_max_f32_e32 v3, v5, v5
	;; [unrolled: 1-line block ×3, first 2 shown]
                                        ; implicit-def: $vgpr28
                                        ; implicit-def: $vgpr24
                                        ; implicit-def: $vgpr2_vgpr3
                                        ; implicit-def: $vgpr40_vgpr41
                                        ; implicit-def: $vgpr4_vgpr5
.LBB0_909:                              ;   in Loop: Header=BB0_539 Depth=2
	s_andn2_saveexec_b64 s[18:19], s[48:49]
	s_cbranch_execz .LBB0_927
; %bb.910:                              ;   in Loop: Header=BB0_539 Depth=2
	v_mov_b32_e32 v29, 0
	v_mov_b32_e32 v5, 0
	s_and_saveexec_b64 s[48:49], vcc
	s_cbranch_execz .LBB0_918
; %bb.911:                              ;   in Loop: Header=BB0_539 Depth=2
	v_cmp_ne_u32_e32 vcc, s68, v24
	v_bfrev_b32_e32 v5, 1
	s_and_saveexec_b64 s[50:51], vcc
	s_cbranch_execz .LBB0_917
; %bb.912:                              ;   in Loop: Header=BB0_539 Depth=2
	v_and_b32_e32 v5, 0x7c000000, v4
	v_bfe_u32 v32, v4, 24, 2
	v_cmp_ne_u32_e32 vcc, s72, v5
                                        ; implicit-def: $vgpr5
	s_and_saveexec_b64 s[52:53], vcc
	s_xor_b64 s[52:53], exec, s[52:53]
	s_cbranch_execz .LBB0_914
; %bb.913:                              ;   in Loop: Header=BB0_539 Depth=2
	v_ffbh_u32_e32 v33, v32
	v_min_u32_e32 v33, 32, v33
	v_bfe_u32 v5, v4, 26, 5
	v_subrev_u32_e32 v36, 29, v33
	v_lshlrev_b64 v[36:37], v36, v[24:25]
	v_sub_u32_e32 v24, 30, v33
	v_cmp_eq_u32_e32 vcc, 0, v5
	v_cndmask_b32_e32 v5, v5, v24, vcc
	v_and_b32_e32 v33, 3, v36
	v_lshl_add_u32 v5, v5, 23, v47
	v_cndmask_b32_e32 v24, v32, v33, vcc
	v_and_or_b32 v4, v4, s67, v5
	v_lshl_or_b32 v5, v24, 21, v4
                                        ; implicit-def: $vgpr32
                                        ; implicit-def: $vgpr40_vgpr41
.LBB0_914:                              ;   in Loop: Header=BB0_539 Depth=2
	s_andn2_saveexec_b64 s[52:53], s[52:53]
; %bb.915:                              ;   in Loop: Header=BB0_539 Depth=2
	v_cmp_lt_i64_e32 vcc, -1, v[40:41]
	v_cndmask_b32_e32 v4, v7, v10, vcc
	v_cmp_eq_u32_e32 vcc, 0, v32
	v_cndmask_b32_e32 v5, v11, v4, vcc
; %bb.916:                              ;   in Loop: Header=BB0_539 Depth=2
	s_or_b64 exec, exec, s[52:53]
.LBB0_917:                              ;   in Loop: Header=BB0_539 Depth=2
	s_or_b64 exec, exec, s[50:51]
.LBB0_918:                              ;   in Loop: Header=BB0_539 Depth=2
	s_or_b64 exec, exec, s[48:49]
	v_cmp_lt_u32_e32 vcc, s39, v54
	s_and_saveexec_b64 s[48:49], vcc
	s_cbranch_execz .LBB0_926
; %bb.919:                              ;   in Loop: Header=BB0_539 Depth=2
	v_cmp_ne_u32_e32 vcc, s68, v28
	v_bfrev_b32_e32 v29, 1
	s_and_saveexec_b64 s[50:51], vcc
	s_cbranch_execz .LBB0_925
; %bb.920:                              ;   in Loop: Header=BB0_539 Depth=2
	v_and_b32_e32 v24, 0x7c000000, v54
	v_bfe_u32 v4, v54, 24, 2
	v_cmp_ne_u32_e32 vcc, s72, v24
                                        ; implicit-def: $vgpr29
	s_and_saveexec_b64 s[52:53], vcc
	s_xor_b64 s[52:53], exec, s[52:53]
	s_cbranch_execz .LBB0_922
; %bb.921:                              ;   in Loop: Header=BB0_539 Depth=2
	v_ffbh_u32_e32 v2, v4
	v_min_u32_e32 v29, 32, v2
	v_subrev_u32_e32 v2, 29, v29
	v_bfe_u32 v24, v54, 26, 5
	v_lshlrev_b64 v[2:3], v2, v[28:29]
	v_sub_u32_e32 v3, 30, v29
	v_cmp_eq_u32_e32 vcc, 0, v24
	v_cndmask_b32_e32 v3, v24, v3, vcc
	v_and_b32_e32 v2, 3, v2
	v_lshl_add_u32 v3, v3, 23, v47
	v_cndmask_b32_e32 v2, v4, v2, vcc
	v_and_or_b32 v3, v54, s67, v3
	v_lshl_or_b32 v29, v2, 21, v3
                                        ; implicit-def: $vgpr4
                                        ; implicit-def: $vgpr2_vgpr3
.LBB0_922:                              ;   in Loop: Header=BB0_539 Depth=2
	s_andn2_saveexec_b64 s[52:53], s[52:53]
; %bb.923:                              ;   in Loop: Header=BB0_539 Depth=2
	v_cmp_lt_i64_e32 vcc, -1, v[2:3]
	v_cndmask_b32_e32 v2, v7, v10, vcc
	v_cmp_eq_u32_e32 vcc, 0, v4
	v_cndmask_b32_e32 v29, v11, v2, vcc
; %bb.924:                              ;   in Loop: Header=BB0_539 Depth=2
	s_or_b64 exec, exec, s[52:53]
.LBB0_925:                              ;   in Loop: Header=BB0_539 Depth=2
	s_or_b64 exec, exec, s[50:51]
.LBB0_926:                              ;   in Loop: Header=BB0_539 Depth=2
	s_or_b64 exec, exec, s[48:49]
	v_max_f32_e32 v2, v29, v29
	v_max_f32_e32 v3, v5, v5
	v_min_f32_e32 v29, v3, v2
.LBB0_927:                              ;   in Loop: Header=BB0_539 Depth=2
	s_or_b64 exec, exec, s[18:19]
	v_and_b32_sdwa v4, v29, s68 dst_sel:DWORD dst_unused:UNUSED_PAD src0_sel:BYTE_3 src1_sel:DWORD
	v_and_b32_e32 v32, 0x7f800000, v29
	v_mov_b32_e32 v33, v55
	v_and_b32_e32 v54, 0x7fffff, v29
	v_or_b32_e32 v2, 0x7b, v4
	v_cmp_ne_u64_e32 vcc, s[40:41], v[32:33]
	s_and_saveexec_b64 s[18:19], vcc
	s_xor_b64 s[48:49], exec, s[18:19]
	s_cbranch_execz .LBB0_937
; %bb.928:                              ;   in Loop: Header=BB0_539 Depth=2
	v_and_b32_e32 v32, 0x7fffffff, v29
	v_mov_b32_e32 v33, v55
	v_cmp_gt_u64_e32 vcc, s[42:43], v[32:33]
	s_and_saveexec_b64 s[50:51], vcc
	s_cbranch_execz .LBB0_936
; %bb.929:                              ;   in Loop: Header=BB0_539 Depth=2
	v_cmp_ne_u32_e32 vcc, 0, v29
	v_mov_b32_e32 v2, 0
	s_and_saveexec_b64 s[52:53], vcc
	s_cbranch_execz .LBB0_935
; %bb.930:                              ;   in Loop: Header=BB0_539 Depth=2
	v_bfe_u32 v2, v29, 23, 8
	v_sub_u32_e32 v5, 0x71, v2
	v_cmp_gt_u32_e32 vcc, s69, v2
	v_cndmask_b32_e32 v5, 0, v5, vcc
	v_cmp_eq_u32_e32 vcc, 0, v2
	v_or_b32_e32 v24, 0x800000, v54
	v_cndmask_b32_e32 v5, v5, v48, vcc
	v_add_u32_e32 v3, 0xffffff81, v2
	v_cndmask_b32_e32 v54, v24, v54, vcc
	v_add_u32_e32 v2, 21, v5
	v_cndmask_b32_e32 v28, v3, v30, vcc
	v_lshlrev_b64 v[2:3], v2, -1
	v_add_u32_e32 v24, 20, v5
	v_lshrrev_b64 v[36:37], v5, v[54:55]
	v_not_b32_e32 v3, v3
	v_not_b32_e32 v2, v2
	v_lshlrev_b64 v[32:33], v24, 1
	v_lshrrev_b32_e32 v24, 23, v36
	v_and_b32_e32 v3, 0, v3
	v_and_b32_e32 v2, v54, v2
	v_add3_u32 v28, v5, v28, v24
	v_bfe_u32 v5, v36, 21, 1
	v_add_u32_e32 v5, -1, v5
	v_cmp_eq_u64_e32 vcc, v[2:3], v[32:33]
	v_cndmask_b32_e32 v2, 0, v5, vcc
	v_add_u32_e32 v2, v2, v36
	v_and_b32_e32 v2, 0x1fffff, v2
	v_add_co_u32_e32 v2, vcc, v2, v36
	v_add_u32_e32 v24, 14, v28
	v_addc_co_u32_e32 v3, vcc, 0, v37, vcc
	v_cmp_ne_u32_e32 vcc, 0, v24
                                        ; implicit-def: $vgpr5
	s_and_saveexec_b64 s[18:19], vcc
	s_xor_b64 s[18:19], exec, s[18:19]
; %bb.931:                              ;   in Loop: Header=BB0_539 Depth=2
	v_add_u32_e32 v5, 15, v28
	v_cmp_lt_u64_e32 vcc, s[44:45], v[2:3]
	v_cndmask_b32_e32 v5, v24, v5, vcc
	v_cndmask_b32_e64 v24, 0, 1, vcc
	v_lshrrev_b64 v[2:3], v24, v[2:3]
; %bb.932:                              ;   in Loop: Header=BB0_539 Depth=2
	s_andn2_saveexec_b64 s[18:19], s[18:19]
; %bb.933:                              ;   in Loop: Header=BB0_539 Depth=2
	v_bfe_u32 v5, v2, 23, 1
; %bb.934:                              ;   in Loop: Header=BB0_539 Depth=2
	s_or_b64 exec, exec, s[18:19]
	v_lshrrev_b64 v[2:3], 21, v[2:3]
	v_cmp_gt_i32_e32 vcc, 32, v5
	v_cndmask_b32_e32 v3, 0, v3, vcc
	v_cndmask_b32_e32 v2, 3, v2, vcc
	v_cmp_eq_u64_e64 s[18:19], 0, v[2:3]
	v_min_i32_e32 v3, 31, v5
	v_lshlrev_b32_e32 v3, 2, v3
	v_cmp_eq_u32_e32 vcc, 0, v5
	v_and_b32_e32 v3, 0xfc, v3
	v_and_or_b32 v2, v2, 3, v3
	s_and_b64 s[18:19], vcc, s[18:19]
	v_cndmask_b32_e64 v2, v2, 0, s[18:19]
	v_or_b32_e32 v2, v2, v4
.LBB0_935:                              ;   in Loop: Header=BB0_539 Depth=2
	s_or_b64 exec, exec, s[52:53]
.LBB0_936:                              ;   in Loop: Header=BB0_539 Depth=2
	s_or_b64 exec, exec, s[50:51]
                                        ; implicit-def: $vgpr29
.LBB0_937:                              ;   in Loop: Header=BB0_539 Depth=2
	s_andn2_saveexec_b64 s[18:19], s[48:49]
; %bb.938:                              ;   in Loop: Header=BB0_539 Depth=2
	v_or_b32_sdwa v3, v29, s70 dst_sel:DWORD dst_unused:UNUSED_PAD src0_sel:BYTE_3 src1_sel:DWORD
	v_cmp_eq_u64_e32 vcc, 0, v[54:55]
	v_cndmask_b32_e32 v2, v3, v2, vcc
; %bb.939:                              ;   in Loop: Header=BB0_539 Depth=2
	s_or_b64 exec, exec, s[18:19]
	v_cmp_lt_u32_e32 vcc, 7, v62
	v_cndmask_b32_e64 v3, 0, 1, vcc
	;;#ASMSTART
	;;#ASMEND
	v_cmp_ne_u32_e64 s[18:19], 0, v3
	s_cmp_lg_u64 s[18:19], exec
	s_mov_b64 s[18:19], -1
	s_cbranch_scc0 .LBB0_949
; %bb.940:                              ;   in Loop: Header=BB0_539 Depth=2
	v_cmp_ne_u32_e64 s[18:19], 1, v62
	flat_store_byte v[0:1], v8
	s_and_saveexec_b64 s[48:49], s[18:19]
	s_cbranch_execnz .LBB0_951
; %bb.941:                              ;   in Loop: Header=BB0_539 Depth=2
	s_or_b64 exec, exec, s[48:49]
	v_cmp_lt_u32_e64 s[18:19], 2, v62
	s_and_saveexec_b64 s[48:49], s[18:19]
	s_cbranch_execnz .LBB0_952
.LBB0_942:                              ;   in Loop: Header=BB0_539 Depth=2
	s_or_b64 exec, exec, s[48:49]
	v_cmp_lt_u32_e64 s[18:19], 3, v62
	s_and_saveexec_b64 s[48:49], s[18:19]
	s_cbranch_execnz .LBB0_953
.LBB0_943:                              ;   in Loop: Header=BB0_539 Depth=2
	s_or_b64 exec, exec, s[48:49]
	v_cmp_lt_u32_e64 s[18:19], 4, v62
	s_and_saveexec_b64 s[48:49], s[18:19]
	s_cbranch_execnz .LBB0_954
.LBB0_944:                              ;   in Loop: Header=BB0_539 Depth=2
	s_or_b64 exec, exec, s[48:49]
	v_cmp_lt_u32_e64 s[18:19], 5, v62
	s_and_saveexec_b64 s[48:49], s[18:19]
	s_cbranch_execnz .LBB0_955
.LBB0_945:                              ;   in Loop: Header=BB0_539 Depth=2
	s_or_b64 exec, exec, s[48:49]
	v_cmp_lt_u32_e64 s[18:19], 6, v62
	s_and_saveexec_b64 s[48:49], s[18:19]
	s_cbranch_execnz .LBB0_956
.LBB0_946:                              ;   in Loop: Header=BB0_539 Depth=2
	s_or_b64 exec, exec, s[48:49]
	s_and_saveexec_b64 s[18:19], vcc
	s_cbranch_execz .LBB0_948
.LBB0_947:                              ;   in Loop: Header=BB0_539 Depth=2
	flat_store_byte v[0:1], v2 offset:7
.LBB0_948:                              ;   in Loop: Header=BB0_539 Depth=2
	s_or_b64 exec, exec, s[18:19]
	s_mov_b64 s[18:19], 0
.LBB0_949:                              ;   in Loop: Header=BB0_539 Depth=2
	s_and_b64 vcc, exec, s[18:19]
	s_cbranch_vccz .LBB0_538
; %bb.950:                              ;   in Loop: Header=BB0_539 Depth=2
	v_perm_b32 v4, v27, v21, s75
	v_lshlrev_b32_e32 v3, 8, v9
	v_perm_b32 v4, v4, v8, s76
	v_and_or_b32 v4, v3, s77, v4
	v_lshlrev_b32_e32 v3, 8, v23
	v_lshlrev_b32_e32 v5, 16, v25
	;; [unrolled: 1-line block ×3, first 2 shown]
	v_perm_b32 v3, v3, v22, s73
	v_and_b32_e32 v5, 0xff0000, v5
	v_or3_b32 v5, v2, v3, v5
	global_store_dwordx2 v[0:1], v[4:5], off
	s_branch .LBB0_538
.LBB0_951:                              ;   in Loop: Header=BB0_539 Depth=2
	flat_store_byte v[0:1], v9 offset:1
	s_or_b64 exec, exec, s[48:49]
	v_cmp_lt_u32_e64 s[18:19], 2, v62
	s_and_saveexec_b64 s[48:49], s[18:19]
	s_cbranch_execz .LBB0_942
.LBB0_952:                              ;   in Loop: Header=BB0_539 Depth=2
	flat_store_byte v[0:1], v21 offset:2
	s_or_b64 exec, exec, s[48:49]
	v_cmp_lt_u32_e64 s[18:19], 3, v62
	s_and_saveexec_b64 s[48:49], s[18:19]
	s_cbranch_execz .LBB0_943
.LBB0_953:                              ;   in Loop: Header=BB0_539 Depth=2
	flat_store_byte v[0:1], v27 offset:3
	s_or_b64 exec, exec, s[48:49]
	v_cmp_lt_u32_e64 s[18:19], 4, v62
	s_and_saveexec_b64 s[48:49], s[18:19]
	s_cbranch_execz .LBB0_944
.LBB0_954:                              ;   in Loop: Header=BB0_539 Depth=2
	flat_store_byte v[0:1], v22 offset:4
	s_or_b64 exec, exec, s[48:49]
	v_cmp_lt_u32_e64 s[18:19], 5, v62
	s_and_saveexec_b64 s[48:49], s[18:19]
	s_cbranch_execz .LBB0_945
.LBB0_955:                              ;   in Loop: Header=BB0_539 Depth=2
	flat_store_byte v[0:1], v23 offset:5
	s_or_b64 exec, exec, s[48:49]
	v_cmp_lt_u32_e64 s[18:19], 6, v62
	s_and_saveexec_b64 s[48:49], s[18:19]
	s_cbranch_execz .LBB0_946
.LBB0_956:                              ;   in Loop: Header=BB0_539 Depth=2
	flat_store_byte v[0:1], v25 offset:6
	s_or_b64 exec, exec, s[48:49]
	s_and_saveexec_b64 s[18:19], vcc
	s_cbranch_execnz .LBB0_947
	s_branch .LBB0_948
.LBB0_957:                              ;   in Loop: Header=BB0_21 Depth=1
	s_or_b64 exec, exec, s[46:47]
	v_accvgpr_read_b32 v33, a11
	v_accvgpr_read_b32 v36, a42
	;; [unrolled: 1-line block ×5, first 2 shown]
.LBB0_958:                              ;   in Loop: Header=BB0_21 Depth=1
	s_or_b64 exec, exec, s[20:21]
	v_accvgpr_read_b32 v4, a4
	v_accvgpr_read_b32 v18, a24
	;; [unrolled: 1-line block ×4, first 2 shown]
	s_and_saveexec_b64 s[18:19], s[10:11]
	s_cbranch_execz .LBB0_977
; %bb.959:                              ;   in Loop: Header=BB0_21 Depth=1
	s_and_saveexec_b64 s[20:21], s[30:31]
	s_xor_b64 s[20:21], exec, s[20:21]
	s_cbranch_execz .LBB0_974
; %bb.960:                              ;   in Loop: Header=BB0_21 Depth=1
	s_and_saveexec_b64 s[46:47], s[12:13]
	s_cbranch_execz .LBB0_973
; %bb.961:                              ;   in Loop: Header=BB0_21 Depth=1
	s_mov_b64 s[50:51], exec
	v_mbcnt_lo_u32_b32 v0, s50, 0
	v_mbcnt_hi_u32_b32 v0, s51, v0
	v_cmp_eq_u32_e32 vcc, 0, v0
	s_waitcnt vmcnt(0) lgkmcnt(0)
	buffer_wbinvl1_vol
	s_and_saveexec_b64 s[48:49], vcc
	s_cbranch_execz .LBB0_963
; %bb.962:                              ;   in Loop: Header=BB0_21 Depth=1
	s_bcnt1_i32_b64 vcc_lo, s[50:51]
	v_mov_b32_e32 v54, vcc_lo
	ds_add_u64 v0, v[54:55]
	s_trap 2
.LBB0_963:                              ;   in Loop: Header=BB0_21 Depth=1
	s_or_b64 exec, exec, s[48:49]
	s_trap 2
	ds_read_b64 v[0:1], v0
	v_accvgpr_read_b32 v2, a30
	v_add_co_u32_e32 v42, vcc, v42, v2
	v_accvgpr_read_b32 v3, a41
	v_addc_co_u32_e32 v43, vcc, v43, v3, vcc
	s_waitcnt lgkmcnt(0)
	v_cmp_lt_u64_e32 vcc, v[0:1], v[42:43]
	s_and_saveexec_b64 s[48:49], vcc
	s_cbranch_execz .LBB0_972
; %bb.964:                              ;   in Loop: Header=BB0_21 Depth=1
	s_mov_b32 s60, 0
	s_mov_b64 s[50:51], 0
                                        ; implicit-def: $sgpr52_sgpr53
                                        ; implicit-def: $sgpr54_sgpr55
	s_branch .LBB0_966
.LBB0_965:                              ;   in Loop: Header=BB0_966 Depth=2
	s_or_b64 exec, exec, s[58:59]
	s_and_b64 vcc, exec, vcc
	s_or_b64 s[50:51], vcc, s[50:51]
	s_andn2_b64 vcc, s[52:53], exec
	s_and_b64 s[52:53], s[54:55], exec
	s_or_b64 s[52:53], vcc, s[52:53]
	s_andn2_b64 exec, exec, s[50:51]
	s_cbranch_execz .LBB0_970
.LBB0_966:                              ;   Parent Loop BB0_21 Depth=1
                                        ; =>  This Inner Loop Header: Depth=2
	s_add_i32 s60, s60, 1
	s_cmpk_lg_i32 s60, 0x2710
	s_cselect_b64 s[56:57], -1, 0
	s_and_b64 vcc, exec, s[56:57]
                                        ; implicit-def: $sgpr58_sgpr59
	s_cbranch_vccnz .LBB0_968
; %bb.967:                              ;   in Loop: Header=BB0_966 Depth=2
	s_trap 2
	ds_read_b64 v[0:1], v0
	s_andn2_b64 s[56:57], s[56:57], exec
	s_mov_b32 s60, 0
	s_mov_b64 s[58:59], -1
	s_waitcnt lgkmcnt(0)
	flat_load_dword v0, v[0:1] glc
	s_waitcnt vmcnt(0) lgkmcnt(0)
	buffer_invl2
	buffer_wbinvl1_vol
	v_cmp_eq_u32_e32 vcc, 0, v0
	s_and_b64 vcc, vcc, exec
	s_or_b64 s[56:57], s[56:57], vcc
.LBB0_968:                              ;   in Loop: Header=BB0_966 Depth=2
	s_andn2_b64 s[54:55], s[54:55], exec
	s_and_b64 s[58:59], s[58:59], exec
	s_mov_b64 vcc, -1
	s_or_b64 s[54:55], s[54:55], s[58:59]
	s_and_saveexec_b64 s[58:59], s[56:57]
	s_cbranch_execz .LBB0_965
; %bb.969:                              ;   in Loop: Header=BB0_966 Depth=2
	s_sleep 1
	s_trap 2
	ds_read_b64 v[0:1], v0
	s_andn2_b64 s[54:55], s[54:55], exec
	s_waitcnt lgkmcnt(0)
	v_cmp_ge_u64_e32 vcc, v[0:1], v[42:43]
	s_orn2_b64 vcc, vcc, exec
	s_branch .LBB0_965
.LBB0_970:                              ;   in Loop: Header=BB0_21 Depth=1
	s_or_b64 exec, exec, s[50:51]
	s_and_saveexec_b64 vcc, s[52:53]
	s_xor_b64 vcc, exec, vcc
	s_cbranch_execz .LBB0_972
; %bb.971:                              ;   in Loop: Header=BB0_21 Depth=1
	v_mov_b32_e32 v0, 1
	ds_write_b32 v0, v0
	s_trap 2
.LBB0_972:                              ;   in Loop: Header=BB0_21 Depth=1
	s_or_b64 exec, exec, s[48:49]
	;;#ASMSTART
	s_wakeup
	;;#ASMEND
.LBB0_973:                              ;   in Loop: Header=BB0_21 Depth=1
	s_or_b64 exec, exec, s[46:47]
.LBB0_974:                              ;   in Loop: Header=BB0_21 Depth=1
	s_andn2_saveexec_b64 s[20:21], s[20:21]
	s_cbranch_execz .LBB0_976
; %bb.975:                              ;   in Loop: Header=BB0_21 Depth=1
	s_waitcnt vmcnt(0) lgkmcnt(0)
	buffer_wbinvl1_vol
	s_barrier
.LBB0_976:                              ;   in Loop: Header=BB0_21 Depth=1
	s_or_b64 exec, exec, s[20:21]
.LBB0_977:                              ;   in Loop: Header=BB0_21 Depth=1
	s_or_b64 exec, exec, s[18:19]
	s_and_saveexec_b64 s[18:19], s[16:17]
	s_cbranch_execz .LBB0_20
; %bb.978:                              ;   in Loop: Header=BB0_21 Depth=1
	v_add_co_u32_e32 v38, vcc, 1, v38
	v_accvgpr_read_b32 v0, a22
	v_addc_co_u32_e32 v39, vcc, 0, v39, vcc
	v_accvgpr_read_b32 v1, a23
	flat_store_dwordx2 v[0:1], v[38:39]
	s_branch .LBB0_20
.LBB0_979:
	s_or_b64 exec, exec, s[28:29]
	v_accvgpr_read_b32 v25, a15
	v_accvgpr_read_b32 v29, a17
	;; [unrolled: 1-line block ×6, first 2 shown]
.LBB0_980:
	s_or_b64 exec, exec, s[26:27]
; %bb.981:
	s_and_saveexec_b64 s[6:7], s[24:25]
	s_cbranch_execnz .LBB0_984
; %bb.982:
	s_or_b64 exec, exec, s[6:7]
	s_and_saveexec_b64 s[6:7], s[4:5]
	s_cbranch_execnz .LBB0_985
.LBB0_983:
	s_or_b64 exec, exec, s[6:7]
	v_cmp_ne_u32_e32 vcc, 64, v20
	s_and_saveexec_b64 s[4:5], vcc
	s_cbranch_execnz .LBB0_986
	s_branch .LBB0_1003
.LBB0_984:
	s_waitcnt vmcnt(0) lgkmcnt(0)
	flat_store_dwordx2 v[28:29], v[38:39] offset:104
	s_or_b64 exec, exec, s[6:7]
	s_and_saveexec_b64 s[6:7], s[4:5]
	s_cbranch_execz .LBB0_983
.LBB0_985:
	s_waitcnt vmcnt(0) lgkmcnt(0)
	flat_store_dwordx2 v[24:25], v[14:15] offset:104
	s_or_b64 exec, exec, s[6:7]
	v_cmp_ne_u32_e32 vcc, 64, v20
	s_and_saveexec_b64 s[4:5], vcc
	s_cbranch_execz .LBB0_1003
.LBB0_986:
	v_cmp_ne_u32_sdwa s[6:7], v9, v20 src0_sel:WORD_0 src1_sel:DWORD
	s_and_saveexec_b64 s[8:9], s[6:7]
	s_xor_b64 s[6:7], exec, s[8:9]
	s_cbranch_execz .LBB0_1001
; %bb.987:
	v_and_b32_e32 v0, 63, v31
	v_cmp_eq_u32_e32 vcc, 0, v0
	s_and_saveexec_b64 s[8:9], vcc
	s_cbranch_execz .LBB0_1000
; %bb.988:
	s_mov_b64 s[12:13], exec
	v_mbcnt_lo_u32_b32 v0, s12, 0
	v_mbcnt_hi_u32_b32 v0, s13, v0
	v_cmp_eq_u32_e32 vcc, 0, v0
	s_waitcnt vmcnt(0) lgkmcnt(0)
	buffer_wbinvl1_vol
	s_and_saveexec_b64 s[10:11], vcc
	s_cbranch_execz .LBB0_990
; %bb.989:
	s_bcnt1_i32_b64 s12, s[12:13]
	v_mov_b32_e32 v0, s12
	v_mov_b32_e32 v1, 0
	ds_add_u64 v0, v[0:1]
	s_trap 2
.LBB0_990:
	s_or_b64 exec, exec, s[10:11]
	v_ashrrev_i32_e32 v0, 31, v20
	v_lshrrev_b32_e32 v0, 26, v0
	v_add_u32_e32 v0, v20, v0
	v_ashrrev_i32_e32 v0, 6, v0
	s_trap 2
	ds_read_b64 v[2:3], v0
	v_ashrrev_i32_e32 v1, 31, v0
	v_add_co_u32_e32 v0, vcc, v42, v0
	v_addc_co_u32_e32 v1, vcc, v43, v1, vcc
	s_waitcnt lgkmcnt(0)
	v_cmp_lt_u64_e32 vcc, v[2:3], v[0:1]
	s_and_saveexec_b64 s[10:11], vcc
	s_cbranch_execz .LBB0_999
; %bb.991:
	s_mov_b32 s24, 0
	s_mov_b64 s[12:13], 0
                                        ; implicit-def: $sgpr14_sgpr15
                                        ; implicit-def: $sgpr16_sgpr17
	s_branch .LBB0_993
.LBB0_992:                              ;   in Loop: Header=BB0_993 Depth=1
	s_or_b64 exec, exec, s[22:23]
	s_and_b64 s[18:19], exec, s[20:21]
	s_or_b64 s[12:13], s[18:19], s[12:13]
	s_andn2_b64 s[14:15], s[14:15], exec
	s_and_b64 s[18:19], s[16:17], exec
	s_or_b64 s[14:15], s[14:15], s[18:19]
	s_andn2_b64 exec, exec, s[12:13]
	s_cbranch_execz .LBB0_997
.LBB0_993:                              ; =>This Inner Loop Header: Depth=1
	s_add_i32 s24, s24, 1
	s_cmpk_lg_i32 s24, 0x2710
	s_cselect_b64 s[18:19], -1, 0
	s_and_b64 vcc, exec, s[18:19]
                                        ; implicit-def: $sgpr22_sgpr23
	s_cbranch_vccnz .LBB0_995
; %bb.994:                              ;   in Loop: Header=BB0_993 Depth=1
	s_trap 2
	ds_read_b64 v[2:3], v0
	s_andn2_b64 s[18:19], s[18:19], exec
	s_mov_b32 s24, 0
	s_mov_b64 s[22:23], -1
	s_waitcnt lgkmcnt(0)
	flat_load_dword v2, v[2:3] glc
	s_waitcnt vmcnt(0) lgkmcnt(0)
	buffer_invl2
	buffer_wbinvl1_vol
	v_cmp_eq_u32_e32 vcc, 0, v2
	s_and_b64 s[20:21], vcc, exec
	s_or_b64 s[18:19], s[18:19], s[20:21]
.LBB0_995:                              ;   in Loop: Header=BB0_993 Depth=1
	s_andn2_b64 s[16:17], s[16:17], exec
	s_and_b64 s[22:23], s[22:23], exec
	s_mov_b64 s[20:21], -1
	s_or_b64 s[16:17], s[16:17], s[22:23]
	s_and_saveexec_b64 s[22:23], s[18:19]
	s_cbranch_execz .LBB0_992
; %bb.996:                              ;   in Loop: Header=BB0_993 Depth=1
	s_sleep 1
	s_trap 2
	ds_read_b64 v[2:3], v0
	s_andn2_b64 s[16:17], s[16:17], exec
	s_waitcnt lgkmcnt(0)
	v_cmp_ge_u64_e32 vcc, v[2:3], v[0:1]
	s_orn2_b64 s[20:21], vcc, exec
	s_branch .LBB0_992
.LBB0_997:
	s_or_b64 exec, exec, s[12:13]
	s_and_saveexec_b64 s[12:13], s[14:15]
	s_xor_b64 s[12:13], exec, s[12:13]
	s_cbranch_execz .LBB0_999
; %bb.998:
	v_mov_b32_e32 v0, 1
	ds_write_b32 v0, v0
	s_trap 2
.LBB0_999:
	s_or_b64 exec, exec, s[10:11]
	;;#ASMSTART
	s_wakeup
	;;#ASMEND
.LBB0_1000:
	s_or_b64 exec, exec, s[8:9]
.LBB0_1001:
	s_andn2_saveexec_b64 s[6:7], s[6:7]
	s_cbranch_execz .LBB0_1003
; %bb.1002:
	s_waitcnt vmcnt(0) lgkmcnt(0)
	buffer_wbinvl1_vol
	s_barrier
.LBB0_1003:
	s_or_b64 exec, exec, s[4:5]
	buffer_load_dword a49, off, s[0:3], s32 ; 4-byte Folded Reload
	buffer_load_dword a48, off, s[0:3], s32 offset:4 ; 4-byte Folded Reload
	buffer_load_dword a46, off, s[0:3], s32 offset:8 ; 4-byte Folded Reload
	;; [unrolled: 1-line block ×31, first 2 shown]
	v_readlane_b32 s30, v63, 46
	v_readlane_b32 s31, v63, 47
	;; [unrolled: 1-line block ×48, first 2 shown]
	s_or_saveexec_b64 s[4:5], -1
	buffer_load_dword v63, off, s[0:3], s32 offset:128 ; 4-byte Folded Reload
	s_mov_b64 exec, s[4:5]
	s_waitcnt vmcnt(0) lgkmcnt(0)
	s_setpc_b64 s[30:31]
.Lfunc_end0:
	.size	_ZN12_GLOBAL__N_17runRingI14__hip_fp8_e5m210FuncMinMaxIS1_E7ProtoLLLi0ELi1ELi0EEEviiP15ncclDevWorkColl, .Lfunc_end0-_ZN12_GLOBAL__N_17runRingI14__hip_fp8_e5m210FuncMinMaxIS1_E7ProtoLLLi0ELi1ELi0EEEviiP15ncclDevWorkColl
                                        ; -- End function
	.section	.AMDGPU.csdata,"",@progbits
; Function info:
; codeLenInByte = 28704
; NumSgprs: 84
; NumVgprs: 64
; NumAgprs: 50
; TotalNumVgprs: 114
; ScratchSize: 136
; MemoryBound: 0
	.text
	.p2align	2                               ; -- Begin function _Z53ncclDevFunc_ReduceScatter_RING_LL_MinMax_f8e5m2_0_0_1v
	.type	_Z53ncclDevFunc_ReduceScatter_RING_LL_MinMax_f8e5m2_0_0_1v,@function
_Z53ncclDevFunc_ReduceScatter_RING_LL_MinMax_f8e5m2_0_0_1v: ; @_Z53ncclDevFunc_ReduceScatter_RING_LL_MinMax_f8e5m2_0_0_1v
; %bb.0:
	s_waitcnt vmcnt(0) expcnt(0) lgkmcnt(0)
	s_mov_b32 s4, s33
	s_mov_b32 s33, s32
	s_or_saveexec_b64 s[6:7], -1
	buffer_store_dword v43, off, s[0:3], s33 offset:16 ; 4-byte Folded Spill
	s_mov_b64 exec, s[6:7]
	v_writelane_b32 v43, s4, 56
	s_addk_i32 s32, 0x800
	buffer_store_dword v40, off, s[0:3], s33 offset:12 ; 4-byte Folded Spill
	buffer_store_dword v41, off, s[0:3], s33 offset:8 ; 4-byte Folded Spill
	;; [unrolled: 1-line block ×3, first 2 shown]
	buffer_store_dword v63, off, s[0:3], s33 ; 4-byte Folded Spill
	v_writelane_b32 v43, s34, 0
	v_writelane_b32 v43, s35, 1
	;; [unrolled: 1-line block ×56, first 2 shown]
	s_trap 2
	ds_read_b32 v0, v0
	v_mov_b32_e32 v40, v31
	v_and_b32_e32 v41, 0x3ff, v40
	s_mov_b32 s82, s12
	s_mov_b64 s[80:81], s[8:9]
	s_waitcnt lgkmcnt(0)
	v_cmp_lt_i32_e32 vcc, v41, v0
	s_and_saveexec_b64 s[4:5], vcc
	s_cbranch_execz .LBB1_5
; %bb.1:
	s_load_dword s6, s[80:81], 0x0
	v_mov_b32_e32 v1, 0
	s_mov_b32 s10, 0
	v_mov_b32_e32 v4, v41
                                        ; implicit-def: $vgpr2
	s_waitcnt lgkmcnt(0)
	s_cmp_lt_u32 s82, s6
	s_cselect_b32 s6, 12, 18
	s_add_u32 s6, s80, s6
	s_addc_u32 s7, s81, 0
	global_load_ushort v1, v1, s[6:7]
	s_trap 2
	ds_read_b32 v3, v0
	s_mov_b64 s[6:7], 0
	s_waitcnt vmcnt(0) lgkmcnt(0)
	v_mul_lo_u32 v3, v3, v1
	s_branch .LBB1_3
.LBB1_2:                                ;   in Loop: Header=BB1_3 Depth=1
	s_or_b64 exec, exec, s[8:9]
	v_add_u32_e32 v4, v4, v1
	v_cmp_ge_i32_e32 vcc, v4, v0
	s_or_b64 s[6:7], vcc, s[6:7]
	v_add_u32_e32 v2, v2, v3
	s_andn2_b64 exec, exec, s[6:7]
	s_cbranch_execz .LBB1_5
.LBB1_3:                                ; =>This Inner Loop Header: Depth=1
	ds_read_b32 v5, v2
	s_waitcnt lgkmcnt(0)
	v_and_b32_e32 v5, 0x1000000, v5
	v_cmp_ne_u32_e32 vcc, 0, v5
	s_and_saveexec_b64 s[8:9], vcc
	s_cbranch_execz .LBB1_2
; %bb.4:                                ;   in Loop: Header=BB1_3 Depth=1
	ds_read_b64 v[6:7], v2 offset:104
	s_waitcnt lgkmcnt(0)
	flat_load_ubyte v5, v[6:7]
	v_mov_b32_e32 v7, s10
	s_waitcnt vmcnt(0) lgkmcnt(0)
	v_and_b32_e32 v6, 0xffff, v5
	ds_write_b64 v2, v[6:7] offset:104
	s_branch .LBB1_2
.LBB1_5:
	s_or_b64 exec, exec, s[4:5]
	s_waitcnt lgkmcnt(0)
	s_barrier
	s_trap 2
	ds_read_b32 v0, v0
	s_waitcnt lgkmcnt(0)
	v_cmp_gt_i32_e32 vcc, 1, v0
	s_cbranch_vccnz .LBB1_13
; %bb.6:
	s_mov_b32 s83, 0
	s_mov_b64 s[84:85], src_shared_base
	v_mov_b32_e32 v42, 6
	s_branch .LBB1_8
.LBB1_7:                                ;   in Loop: Header=BB1_8 Depth=1
	s_or_b64 exec, exec, s[86:87]
	s_trap 2
	ds_read_b32 v0, v0
	s_add_i32 s83, s83, 1
	s_waitcnt lgkmcnt(0)
	v_cmp_lt_i32_e32 vcc, s83, v0
	s_cbranch_vccz .LBB1_13
.LBB1_8:                                ; =>This Inner Loop Header: Depth=1
	s_trap 2
	ds_read_b32 v0, v0
	s_cmp_eq_u32 s83, 0
	s_cbranch_scc1 .LBB1_11
; %bb.9:                                ;   in Loop: Header=BB1_8 Depth=1
	s_trap 2
	s_waitcnt lgkmcnt(0)
	ds_read_b32 v1, v0
	s_waitcnt lgkmcnt(0)
	v_xor_b32_e32 v1, v1, v0
	v_and_b32_e32 v1, 0xff0000, v1
	v_cmp_eq_u32_e32 vcc, 0, v1
	s_cbranch_vccnz .LBB1_11
; %bb.10:                               ;   in Loop: Header=BB1_8 Depth=1
	s_barrier
	ds_read_b32 v0, v0
.LBB1_11:                               ;   in Loop: Header=BB1_8 Depth=1
	s_waitcnt lgkmcnt(0)
	v_lshlrev_b32_sdwa v1, v42, v0 dst_sel:DWORD dst_unused:UNUSED_PAD src0_sel:DWORD src1_sel:BYTE_2
	v_cmp_lt_u32_e32 vcc, v41, v1
	s_and_saveexec_b64 s[86:87], vcc
	s_cbranch_execz .LBB1_7
; %bb.12:                               ;   in Loop: Header=BB1_8 Depth=1
	s_mov_b64 s[8:9], s[80:81]
	s_mov_b32 s12, s82
	v_mov_b32_e32 v31, v40
	v_mov_b32_e32 v0, v41
	;; [unrolled: 1-line block ×3, first 2 shown]
	s_getpc_b64 s[4:5]
	s_add_u32 s4, s4, _ZN12_GLOBAL__N_17runRingI14__hip_fp8_e5m210FuncMinMaxIS1_E7ProtoLLLi0ELi1ELi0EEEviiP15ncclDevWorkColl@rel32@lo+4
	s_addc_u32 s5, s5, _ZN12_GLOBAL__N_17runRingI14__hip_fp8_e5m210FuncMinMaxIS1_E7ProtoLLLi0ELi1ELi0EEEviiP15ncclDevWorkColl@rel32@hi+12
	s_swappc_b64 s[30:31], s[4:5]
	s_branch .LBB1_7
.LBB1_13:
	buffer_load_dword v63, off, s[0:3], s33 ; 4-byte Folded Reload
	buffer_load_dword v42, off, s[0:3], s33 offset:4 ; 4-byte Folded Reload
	buffer_load_dword v41, off, s[0:3], s33 offset:8 ; 4-byte Folded Reload
	;; [unrolled: 1-line block ×3, first 2 shown]
	v_readlane_b32 s30, v43, 54
	v_readlane_b32 s31, v43, 55
	;; [unrolled: 1-line block ×57, first 2 shown]
	s_or_saveexec_b64 s[6:7], -1
	buffer_load_dword v43, off, s[0:3], s33 offset:16 ; 4-byte Folded Reload
	s_mov_b64 exec, s[6:7]
	s_addk_i32 s32, 0xf800
	s_mov_b32 s33, s4
	s_waitcnt vmcnt(0)
	s_setpc_b64 s[30:31]
.Lfunc_end1:
	.size	_Z53ncclDevFunc_ReduceScatter_RING_LL_MinMax_f8e5m2_0_0_1v, .Lfunc_end1-_Z53ncclDevFunc_ReduceScatter_RING_LL_MinMax_f8e5m2_0_0_1v
                                        ; -- End function
	.section	.AMDGPU.csdata,"",@progbits
; Function info:
; codeLenInByte = 1504
; NumSgprs: 92
; NumVgprs: 64
; NumAgprs: 50
; TotalNumVgprs: 114
; ScratchSize: 168
; MemoryBound: 0
	.text
	.p2align	2                               ; -- Begin function _ZN12_GLOBAL__N_17runRingI14__hip_fp8_e5m210FuncMinMaxIS1_E7ProtoLLLi0ELi2ELi0EEEviiP15ncclDevWorkColl
	.type	_ZN12_GLOBAL__N_17runRingI14__hip_fp8_e5m210FuncMinMaxIS1_E7ProtoLLLi0ELi2ELi0EEEviiP15ncclDevWorkColl,@function
_ZN12_GLOBAL__N_17runRingI14__hip_fp8_e5m210FuncMinMaxIS1_E7ProtoLLLi0ELi2ELi0EEEviiP15ncclDevWorkColl: ; @_ZN12_GLOBAL__N_17runRingI14__hip_fp8_e5m210FuncMinMaxIS1_E7ProtoLLLi0ELi2ELi0EEEviiP15ncclDevWorkColl
; %bb.0:
	s_waitcnt vmcnt(0) expcnt(0) lgkmcnt(0)
	s_or_saveexec_b64 s[4:5], -1
	buffer_store_dword v63, off, s[0:3], s32 offset:128 ; 4-byte Folded Spill
	s_mov_b64 exec, s[4:5]
	buffer_store_dword v40, off, s[0:3], s32 offset:124 ; 4-byte Folded Spill
	buffer_store_dword v41, off, s[0:3], s32 offset:120 ; 4-byte Folded Spill
	;; [unrolled: 1-line block ×31, first 2 shown]
	buffer_store_dword a49, off, s[0:3], s32 ; 4-byte Folded Spill
	v_writelane_b32 v63, s34, 0
	v_writelane_b32 v63, s35, 1
	v_writelane_b32 v63, s36, 2
	v_writelane_b32 v63, s37, 3
	v_writelane_b32 v63, s38, 4
	v_writelane_b32 v63, s39, 5
	v_writelane_b32 v63, s40, 6
	v_writelane_b32 v63, s41, 7
	v_writelane_b32 v63, s42, 8
	v_writelane_b32 v63, s43, 9
	v_writelane_b32 v63, s44, 10
	v_writelane_b32 v63, s45, 11
	v_writelane_b32 v63, s46, 12
	v_writelane_b32 v63, s47, 13
	v_writelane_b32 v63, s48, 14
	v_writelane_b32 v63, s49, 15
	v_writelane_b32 v63, s50, 16
	v_writelane_b32 v63, s51, 17
	v_writelane_b32 v63, s52, 18
	v_writelane_b32 v63, s53, 19
	v_writelane_b32 v63, s54, 20
	v_writelane_b32 v63, s55, 21
	v_writelane_b32 v63, s56, 22
	v_writelane_b32 v63, s57, 23
	v_writelane_b32 v63, s58, 24
	v_writelane_b32 v63, s59, 25
	v_writelane_b32 v63, s60, 26
	v_writelane_b32 v63, s61, 27
	v_writelane_b32 v63, s62, 28
	v_writelane_b32 v63, s63, 29
	v_writelane_b32 v63, s64, 30
	v_writelane_b32 v63, s65, 31
	v_writelane_b32 v63, s66, 32
	v_writelane_b32 v63, s67, 33
	v_writelane_b32 v63, s68, 34
	v_writelane_b32 v63, s69, 35
	v_writelane_b32 v63, s70, 36
	v_writelane_b32 v63, s71, 37
	v_writelane_b32 v63, s72, 38
	v_writelane_b32 v63, s73, 39
	v_writelane_b32 v63, s74, 40
	v_writelane_b32 v63, s75, 41
	v_writelane_b32 v63, s76, 42
	v_writelane_b32 v63, s77, 43
	v_writelane_b32 v63, s78, 44
	v_writelane_b32 v63, s79, 45
	v_writelane_b32 v63, s30, 46
	v_writelane_b32 v63, s31, 47
	s_trap 2
	flat_load_dword v7, v[2:3]
	flat_load_dwordx4 v[10:13], v[2:3] offset:72
	flat_load_dwordx2 v[22:23], v[2:3] offset:88
	ds_read_b32 v5, v0
	ds_read_b64 v[60:61], v0
	v_mov_b32_e32 v20, v1
                                        ; implicit-def: $vgpr26_vgpr27
                                        ; implicit-def: $agpr8_agpr9
	s_waitcnt lgkmcnt(0)
	v_readfirstlane_b32 s22, v5
	s_waitcnt vmcnt(0)
	v_not_b32_sdwa v6, v7 dst_sel:DWORD dst_unused:UNUSED_PAD src0_sel:BYTE_0
	v_add_u32_sdwa v4, v7, v6 dst_sel:DWORD dst_unused:UNUSED_PAD src0_sel:BYTE_1 src1_sel:DWORD
	v_ashrrev_i32_e32 v8, 31, v4
	v_mul_lo_u32 v9, v13, v4
	v_mad_u64_u32 v[18:19], s[4:5], v12, v4, 0
	v_accvgpr_write_b32 a2, v10
	v_mul_lo_u32 v4, v12, v8
	v_accvgpr_write_b32 a3, v11
	v_accvgpr_write_b32 a4, v12
	;; [unrolled: 1-line block ×3, first 2 shown]
	v_add3_u32 v4, v19, v4, v9
	v_cmp_ne_u32_sdwa s[4:5], v7, v5 src0_sel:BYTE_0 src1_sel:DWORD
	s_and_saveexec_b64 s[6:7], s[4:5]
	s_xor_b64 s[4:5], exec, s[6:7]
	s_cbranch_execz .LBB2_6
; %bb.1:
	v_cmp_ne_u32_sdwa s[6:7], v7, v5 src0_sel:BYTE_1 src1_sel:DWORD
                                        ; implicit-def: $vgpr26_vgpr27
                                        ; implicit-def: $agpr8_agpr9
	s_and_saveexec_b64 s[10:11], s[6:7]
	s_xor_b64 s[6:7], exec, s[10:11]
	s_cbranch_execz .LBB2_3
; %bb.2:
	flat_load_dwordx2 v[8:9], v[2:3] offset:96
	v_add_u32_e32 v5, v5, v6
	v_accvgpr_read_b32 v13, a5
	v_ashrrev_i32_e32 v6, 31, v5
	v_accvgpr_read_b32 v12, a4
	v_accvgpr_read_b32 v11, a3
	;; [unrolled: 1-line block ×3, first 2 shown]
	v_mul_lo_u32 v6, v12, v6
	v_mul_lo_u32 v7, v13, v5
	v_mad_u64_u32 v[10:11], s[10:11], v12, v5, v[10:11]
	v_add3_u32 v11, v7, v11, v6
	v_accvgpr_write_b32 a8, v10
	v_accvgpr_write_b32 a9, v11
	s_waitcnt vmcnt(0) lgkmcnt(0)
	v_lshrrev_b64 v[26:27], 17, v[8:9]
.LBB2_3:
	s_andn2_saveexec_b64 s[6:7], s[6:7]
	s_cbranch_execz .LBB2_5
; %bb.4:
	flat_load_dword v5, v[2:3] offset:100
	v_accvgpr_read_b32 v7, a3
	v_accvgpr_read_b32 v6, a2
	v_add_co_u32_e32 v8, vcc, v18, v6
	v_addc_co_u32_e32 v9, vcc, v4, v7, vcc
	v_accvgpr_write_b32 a8, v8
	v_accvgpr_write_b32 a9, v9
	v_pk_mov_b32 v[8:9], v[22:23], v[22:23] op_sel:[0,1]
	v_accvgpr_write_b32 a2, v6
	v_accvgpr_write_b32 a3, v7
	;; [unrolled: 1-line block ×4, first 2 shown]
	s_waitcnt vmcnt(0) lgkmcnt(0)
	v_lshrrev_b32_e32 v26, 6, v5
.LBB2_5:
	s_or_b64 exec, exec, s[6:7]
.LBB2_6:
	s_andn2_saveexec_b64 s[4:5], s[4:5]
	s_cbranch_execz .LBB2_8
; %bb.7:
	flat_load_dwordx2 v[6:7], v[2:3] offset:96
	v_pk_mov_b32 v[8:9], 0, 0
	v_accvgpr_write_b32 a8, v8
	v_accvgpr_mov_b32 a5, a3
	v_accvgpr_write_b32 a9, v9
	v_accvgpr_mov_b32 a4, a2
	s_waitcnt vmcnt(0) lgkmcnt(0)
	v_lshlrev_b64 v[26:27], 4, v[6:7]
.LBB2_8:
	s_or_b64 exec, exec, s[4:5]
	s_load_dword s4, s[8:9], 0x0
	flat_load_dwordx2 v[8:9], v[2:3] offset:104
	flat_load_ushort v7, v[2:3] offset:8
	flat_load_dword v6, v[2:3] offset:4
	flat_load_dwordx4 a[10:13], v[2:3] offset:16
	v_mov_b32_e32 v3, 0
	v_mov_b32_e32 v10, v0
	s_waitcnt lgkmcnt(0)
	s_cmp_lt_u32 s12, s4
	s_cselect_b32 s4, 12, 18
	s_add_u32 s4, s8, s4
	s_addc_u32 s5, s9, 0
	global_load_ushort v9, v3, s[4:5]
	s_trap 2
	ds_read_b32 v2, v0
	v_and_b32_e32 v5, 63, v10
	s_mov_b32 s6, 0
	v_pk_mov_b32 v[24:25], 0, 0
	v_cmp_eq_u32_e64 s[4:5], 0, v5
	s_waitcnt lgkmcnt(0)
	v_cmp_gt_i32_e32 vcc, 0, v2
	v_readfirstlane_b32 s8, v2
	s_waitcnt vmcnt(0)
	v_lshrrev_b64 v[6:7], 31, v[6:7]
	v_and_b32_e32 v6, 3, v6
	s_cbranch_vccnz .LBB2_10
; %bb.9:
	s_trap 2
	ds_read_b64 v[10:11], v0
	v_lshlrev_b64 v[2:3], 3, v[2:3]
	v_and_b32_e32 v7, 0xffff, v6
	s_movk_i32 s6, 0xa8
	s_waitcnt lgkmcnt(0)
	v_add_co_u32_e32 v2, vcc, v10, v2
	v_addc_co_u32_e32 v3, vcc, v11, v3, vcc
	flat_load_dwordx2 v[2:3], v[2:3]
	s_waitcnt vmcnt(0) lgkmcnt(0)
	v_mad_u64_u32 v[2:3], s[6:7], v7, s6, v[2:3]
	flat_load_dwordx2 a[18:19], v[2:3] offset:504
	flat_load_dwordx2 v[34:35], v[2:3] offset:608
	v_add_co_u32_e32 v2, vcc, 0x1f8, v2
	v_addc_co_u32_e32 v3, vcc, 0, v3, vcc
	v_cndmask_b32_e64 v29, 0, v3, s[4:5]
	v_cndmask_b32_e64 v28, 0, v2, s[4:5]
	s_mov_b32 s6, 1
	s_branch .LBB2_11
.LBB2_10:
	v_pk_mov_b32 v[28:29], v[24:25], v[24:25] op_sel:[0,1]
                                        ; implicit-def: $vgpr34_vgpr35
                                        ; implicit-def: $agpr18_agpr19
.LBB2_11:
	s_trap 2
	ds_read_b32 v2, v0
	s_waitcnt lgkmcnt(0)
	v_cmp_gt_i32_e32 vcc, 0, v2
	s_cbranch_vccnz .LBB2_13
; %bb.12:
	s_trap 2
	ds_read_b64 v[10:11], v0
	v_mov_b32_e32 v3, 0
	v_lshlrev_b64 v[2:3], 3, v[2:3]
	v_and_b32_e32 v6, 0xffff, v6
	s_movk_i32 s4, 0xa8
	s_waitcnt lgkmcnt(0)
	v_add_co_u32_e32 v2, vcc, v10, v2
	v_addc_co_u32_e32 v3, vcc, v11, v3, vcc
	flat_load_dwordx2 v[2:3], v[2:3]
	v_cmp_eq_u32_e32 vcc, 0, v5
	s_waitcnt vmcnt(0) lgkmcnt(0)
	v_mad_u64_u32 v[2:3], s[4:5], v6, s4, v[2:3]
	flat_load_dwordx2 a[20:21], v[2:3]
	flat_load_dwordx2 v[16:17], v[2:3] offset:104
	v_cndmask_b32_e32 v25, 0, v3, vcc
	v_cndmask_b32_e32 v24, 0, v2, vcc
	s_branch .LBB2_14
.LBB2_13:
                                        ; implicit-def: $vgpr16_vgpr17
                                        ; implicit-def: $agpr20_agpr21
.LBB2_14:
	v_subrev_u32_e32 v2, 64, v20
	v_mov_b32_e32 v6, v0
	v_pk_mov_b32 v[12:13], 0, 0
	v_cmp_le_i32_e32 vcc, v2, v6
	v_cmp_gt_u32_e64 s[4:5], s6, v5
	v_accvgpr_write_b32 a23, v13
	s_and_b64 s[24:25], vcc, s[4:5]
	v_accvgpr_write_b32 a22, v12
                                        ; implicit-def: $vgpr38_vgpr39
	s_and_saveexec_b64 s[4:5], s[24:25]
	s_cbranch_execz .LBB2_16
; %bb.15:
	flat_load_dwordx2 a[22:23], v[28:29] offset:56
	flat_load_dwordx2 v[38:39], v[28:29] offset:104
.LBB2_16:
	s_or_b64 exec, exec, s[4:5]
	v_mov_b32_e32 v2, v0
	v_cmp_gt_i32_e64 s[4:5], s6, v2
	v_pk_mov_b32 v[32:33], v[12:13], v[12:13] op_sel:[0,1]
                                        ; implicit-def: $vgpr52_vgpr53
	s_and_saveexec_b64 s[6:7], s[4:5]
	s_cbranch_execz .LBB2_18
; %bb.17:
	flat_load_dwordx2 v[32:33], v[24:25] offset:56
	s_waitcnt vmcnt(0) lgkmcnt(0)
	flat_load_dwordx2 v[52:53], v[32:33] glc
	s_waitcnt vmcnt(0)
	flat_load_dwordx4 v[12:15], v[24:25] offset:96
.LBB2_18:
	s_or_b64 exec, exec, s[6:7]
	v_accvgpr_read_b32 v51, a5
	v_accvgpr_read_b32 v50, a4
	;; [unrolled: 1-line block ×4, first 2 shown]
	v_cmp_ne_u64_e32 vcc, 0, v[50:51]
	v_pk_mov_b32 v[42:43], 0, 0
	s_and_saveexec_b64 s[26:27], vcc
	s_cbranch_execz .LBB2_980
; %bb.19:
	v_add_co_u32_e32 v1, vcc, v22, v48
	s_ashr_i32 s6, s8, 31
	v_addc_co_u32_e32 v2, vcc, v23, v49, vcc
	s_lshr_b32 s6, s6, 29
	v_add_co_u32_e32 v1, vcc, v1, v18
	s_ashr_i32 s23, s22, 31
	s_add_i32 s8, s8, s6
	v_accvgpr_write_b32 a3, v1
	v_addc_co_u32_e32 v1, vcc, v2, v4, vcc
	s_lshl_b64 s[6:7], s[22:23], 2
	v_accvgpr_write_b32 a26, v1
	v_mov_b32_e32 v1, s7
	v_add_co_u32_e32 v2, vcc, s6, v60
	v_addc_co_u32_e32 v1, vcc, v61, v1, vcc
	v_add_co_u32_e32 v2, vcc, -4, v2
	v_mov_b32_e32 v55, 0
	v_addc_co_u32_e32 v3, vcc, -1, v1, vcc
	v_and_b32_e32 v6, 0x1fffff0, v26
	v_mov_b32_e32 v7, v55
	v_accvgpr_write_b32 a29, v3
	v_and_b32_e32 v1, 63, v31
	v_ashrrev_i32_e32 v21, 31, v20
	v_pk_mov_b32 v[18:19], v[6:7], v[6:7] op_sel:[0,1]
	v_accvgpr_write_b32 a28, v2
	v_cmp_eq_u32_e64 s[12:13], 0, v1
	v_lshrrev_b32_e32 v1, 26, v21
	v_mov_b32_e32 v2, v0
	v_accvgpr_read_b32 v4, a10
	v_add_u32_e32 v1, v20, v1
	v_lshlrev_b32_e32 v10, 3, v2
	v_accvgpr_read_b32 v6, a12
	v_and_b32_e32 v0, 1, v8
	v_ashrrev_i32_e32 v22, 6, v1
	v_ashrrev_i32_e32 v3, 31, v10
	v_accvgpr_read_b32 v7, a13
	v_add_co_u32_e32 v6, vcc, v6, v10
	v_cmp_eq_u32_e64 s[14:15], 1, v0
	s_waitcnt vmcnt(0) lgkmcnt(0)
	v_accvgpr_read_b32 v0, a22
	v_addc_co_u32_e32 v7, vcc, v7, v3, vcc
	v_accvgpr_read_b32 v1, a23
	v_accvgpr_read_b32 v5, a11
	v_cmp_ne_u64_e64 s[16:17], 0, v[0:1]
	v_add_co_u32_e32 v0, vcc, v4, v10
	v_accvgpr_write_b32 a34, v0
	v_addc_co_u32_e32 v0, vcc, v5, v3, vcc
	v_accvgpr_write_b32 a35, v0
	v_accvgpr_read_b32 v0, a8
	v_accvgpr_read_b32 v1, a9
	v_add_co_u32_e32 v0, vcc, v6, v0
	v_addc_co_u32_e32 v1, vcc, v7, v1, vcc
	v_accvgpr_write_b32 a27, v3
	v_accvgpr_write_b32 a37, v1
	v_ashrrev_i32_e32 v3, 31, v2
	s_ashr_i32 s10, s8, 3
	v_accvgpr_write_b32 a36, v0
	v_accvgpr_write_b32 a2, v2
	v_lshlrev_b64 v[0:1], 4, v[2:3]
	v_accvgpr_read_b32 v2, a20
	s_ashr_i32 s62, s8, 7
	s_and_b32 s23, s10, -16
	v_accvgpr_read_b32 v3, a21
	v_add_co_u32_e32 v0, vcc, v2, v0
	v_accvgpr_write_b32 a16, v28
	v_accvgpr_write_b32 a14, v24
	;; [unrolled: 1-line block ×3, first 2 shown]
	s_cmp_gt_i32 s22, 2
	v_lshlrev_b32_e32 v31, 6, v20
	v_accvgpr_write_b32 a39, v0
	v_addc_co_u32_e32 v0, vcc, v3, v1, vcc
	s_mov_b32 s38, -1
	v_ashrrev_i32_e32 v1, 31, v22
	v_lshlrev_b32_e32 v56, 3, v20
	v_pk_mov_b32 v[36:37], 0, 0
	v_accvgpr_write_b32 a10, v32
	v_accvgpr_write_b32 a17, v29
	;; [unrolled: 1-line block ×3, first 2 shown]
	s_mov_b64 s[28:29], 0
	v_cmp_ne_u64_e64 s[6:7], 0, v[32:33]
	v_cmp_ne_u64_e64 s[8:9], 0, v[12:13]
	v_cmp_ne_u32_e64 s[10:11], 64, v20
	v_accvgpr_write_b32 a1, v9
	v_cmp_ne_u32_sdwa s[30:31], v9, v20 src0_sel:WORD_0 src1_sel:DWORD
	s_cselect_b64 s[34:35], -1, 0
	v_accvgpr_write_b32 a32, v10
	v_accvgpr_write_b32 a31, v6
	;; [unrolled: 1-line block ×4, first 2 shown]
	s_movk_i32 s63, 0x2710
	s_mov_b64 s[36:37], 0x7ffffff8
	s_movk_i32 s64, 0xff
	s_movk_i32 s65, 0xff80
	;; [unrolled: 1-line block ×3, first 2 shown]
	s_brev_b32 s67, 1
	s_mov_b32 s39, 0xffffff
	s_movk_i32 s68, 0x80
	s_mov_b64 s[40:41], 0x7f800000
	s_mov_b64 s[42:43], 0x47600001
	s_movk_i32 s69, 0x72
	s_mov_b64 s[44:45], 0xffffff
	s_movk_i32 s70, 0x7f
	s_mov_b32 s71, 0x7c0000
	s_brev_b32 s72, 62
	s_mov_b32 s73, 0xc0c0500
	s_mov_b32 s74, 0x4020c0c
	;; [unrolled: 1-line block ×5, first 2 shown]
	v_bfrev_b32_e32 v47, 28
	v_mov_b32_e32 v6, -1
	v_mov_b32_e32 v7, 0xc7600000
	v_mov_b32_e32 v10, 0x47600000
	;; [unrolled: 1-line block ×6, first 2 shown]
	v_accvgpr_write_b32 a30, v22
	v_accvgpr_write_b32 a41, v1
	v_ashrrev_i32_e32 v57, 31, v56
	v_lshlrev_b64 v[58:59], 4, v[20:21]
	v_pk_mov_b32 v[42:43], v[36:37], v[36:37] op_sel:[0,1]
	v_pk_mov_b32 v[4:5], v[50:51], v[50:51] op_sel:[0,1]
	v_accvgpr_write_b32 a11, v33
	v_accvgpr_write_b32 a38, v31
	s_branch .LBB2_21
.LBB2_20:                               ;   in Loop: Header=BB2_21 Depth=1
	s_or_b64 exec, exec, s[18:19]
	v_add_co_u32_e32 v34, vcc, 1, v34
	v_addc_co_u32_e32 v35, vcc, 0, v35, vcc
	v_add_co_u32_e32 v36, vcc, v36, v18
	v_addc_co_u32_e32 v37, vcc, 0, v37, vcc
	v_cmp_ge_u64_e32 vcc, v[36:37], v[4:5]
	v_accvgpr_read_b32 v0, a36
	s_or_b64 s[28:29], vcc, s[28:29]
	v_accvgpr_read_b32 v1, a37
	v_add_co_u32_e32 v0, vcc, v0, v18
	v_addc_co_u32_e32 v1, vcc, 0, v1, vcc
	v_accvgpr_write_b32 a37, v1
	v_accvgpr_write_b32 a36, v0
	s_andn2_b64 exec, exec, s[28:29]
	s_cbranch_execz .LBB2_979
.LBB2_21:                               ; =>This Loop Header: Depth=1
                                        ;     Child Loop BB2_28 Depth 2
                                        ;     Child Loop BB2_45 Depth 2
	;; [unrolled: 1-line block ×5, first 2 shown]
                                        ;       Child Loop BB2_85 Depth 3
                                        ;       Child Loop BB2_101 Depth 3
                                        ;       Child Loop BB2_114 Depth 3
                                        ;         Child Loop BB2_122 Depth 4
                                        ;       Child Loop BB2_522 Depth 3
                                        ;       Child Loop BB2_78 Depth 3
                                        ;     Child Loop BB2_539 Depth 2
                                        ;       Child Loop BB2_547 Depth 3
                                        ;     Child Loop BB2_966 Depth 2
	v_accvgpr_read_b32 v0, a28
	v_accvgpr_read_b32 v1, a29
	s_waitcnt vmcnt(0) lgkmcnt(0)
	flat_load_dword v2, v[0:1]
	v_sub_co_u32_e32 v0, vcc, v4, v36
	v_subb_co_u32_e32 v1, vcc, v5, v37, vcc
	v_cmp_lt_u64_e32 vcc, v[18:19], v[0:1]
	v_cndmask_b32_e32 v3, v0, v18, vcc
	v_lshl_add_u32 v0, v3, 1, 14
	v_and_b32_e32 v0, 0x7fffff0, v0
	v_accvgpr_write_b32 a44, v0
	s_and_saveexec_b64 s[18:19], s[6:7]
	s_cbranch_execz .LBB2_37
; %bb.22:                               ;   in Loop: Header=BB2_21 Depth=1
	v_add_co_u32_e32 v0, vcc, 1, v14
	v_addc_co_u32_e32 v1, vcc, 0, v15, vcc
	v_add_co_u32_e32 v4, vcc, 8, v52
	v_addc_co_u32_e32 v5, vcc, 0, v53, vcc
	v_cmp_lt_u64_e32 vcc, v[4:5], v[0:1]
	s_and_saveexec_b64 s[20:21], vcc
	s_cbranch_execz .LBB2_34
; %bb.23:                               ;   in Loop: Header=BB2_21 Depth=1
	s_sleep 1
	flat_load_dwordx2 v[52:53], v[32:33] glc
	v_cmp_eq_u32_e32 vcc, 0, v49
	s_and_saveexec_b64 s[46:47], vcc
	s_cbranch_execz .LBB2_33
; %bb.24:                               ;   in Loop: Header=BB2_21 Depth=1
	v_cndmask_b32_e64 v4, 0, 1, vcc
	s_mov_b64 s[48:49], 0
                                        ; implicit-def: $sgpr50_sgpr51
	s_branch .LBB2_28
.LBB2_25:                               ;   in Loop: Header=BB2_28 Depth=2
	s_or_b64 exec, exec, s[58:59]
	s_orn2_b64 s[56:57], s[56:57], exec
.LBB2_26:                               ;   in Loop: Header=BB2_28 Depth=2
	s_or_b64 exec, exec, s[54:55]
	s_xor_b64 vcc, s[56:57], -1
	s_andn2_b64 s[50:51], s[50:51], exec
	s_and_b64 vcc, vcc, exec
	s_or_b64 s[50:51], s[50:51], vcc
.LBB2_27:                               ;   in Loop: Header=BB2_28 Depth=2
	s_or_b64 exec, exec, s[52:53]
	s_and_b64 vcc, exec, s[50:51]
	s_or_b64 s[48:49], vcc, s[48:49]
	s_andn2_b64 exec, exec, s[48:49]
	s_cbranch_execz .LBB2_32
.LBB2_28:                               ;   Parent Loop BB2_21 Depth=1
                                        ; =>  This Inner Loop Header: Depth=2
	s_waitcnt vmcnt(0) lgkmcnt(0)
	v_add_co_u32_e32 v8, vcc, 8, v52
	v_addc_co_u32_e32 v9, vcc, 0, v53, vcc
	v_cmp_lt_u64_e32 vcc, v[8:9], v[0:1]
	v_mov_b32_e32 v49, 0
	s_or_b64 s[50:51], s[50:51], exec
	s_and_saveexec_b64 s[52:53], vcc
	s_cbranch_execz .LBB2_27
; %bb.29:                               ;   in Loop: Header=BB2_28 Depth=2
	s_sleep 1
	flat_load_dwordx2 v[52:53], v[32:33] glc
	v_add_u32_e32 v4, 1, v4
	v_cmp_eq_u32_e32 vcc, s63, v4
	s_mov_b64 s[56:57], -1
	v_mov_b32_e32 v49, 0
	s_and_saveexec_b64 s[54:55], vcc
	s_cbranch_execz .LBB2_26
; %bb.30:                               ;   in Loop: Header=BB2_28 Depth=2
	s_trap 2
	ds_read_b64 v[4:5], v0
	v_mov_b32_e32 v49, 0
	s_waitcnt vmcnt(0) lgkmcnt(0)
	flat_load_dword v5, v[4:5] glc
	s_waitcnt vmcnt(0) lgkmcnt(0)
	buffer_invl2
	buffer_wbinvl1_vol
	v_mov_b32_e32 v4, 0
	v_cmp_ne_u32_e32 vcc, 0, v5
	s_and_saveexec_b64 s[58:59], vcc
	s_cbranch_execz .LBB2_25
; %bb.31:                               ;   in Loop: Header=BB2_28 Depth=2
	v_mov_b32_e32 v49, 1
	s_xor_b64 s[56:57], exec, -1
	ds_write_b32 v0, v5
	s_trap 2
	s_branch .LBB2_25
.LBB2_32:                               ;   in Loop: Header=BB2_21 Depth=1
	s_or_b64 exec, exec, s[48:49]
.LBB2_33:                               ;   in Loop: Header=BB2_21 Depth=1
	s_or_b64 exec, exec, s[46:47]
.LBB2_34:                               ;   in Loop: Header=BB2_21 Depth=1
	s_or_b64 exec, exec, s[20:21]
	s_and_saveexec_b64 s[20:21], s[8:9]
	s_cbranch_execz .LBB2_36
; %bb.35:                               ;   in Loop: Header=BB2_21 Depth=1
	v_and_b32_e32 v54, 0x7ffffff8, v14
	v_mov_b32_e32 v4, s23
	v_cmp_eq_u64_e32 vcc, s[36:37], v[54:55]
	v_accvgpr_read_b32 v5, a44
	v_cndmask_b32_e32 v4, v5, v4, vcc
	v_and_b32_e32 v8, 7, v14
	v_ashrrev_i32_e32 v5, 31, v4
	v_mad_u64_u32 v[8:9], vcc, v8, 24, v[12:13]
	flat_store_dwordx2 v[8:9], v[4:5] offset:8
	s_waitcnt vmcnt(0)
.LBB2_36:                               ;   in Loop: Header=BB2_21 Depth=1
	s_or_b64 exec, exec, s[20:21]
	v_pk_mov_b32 v[14:15], v[0:1], v[0:1] op_sel:[0,1]
.LBB2_37:                               ;   in Loop: Header=BB2_21 Depth=1
	s_or_b64 exec, exec, s[18:19]
	s_and_saveexec_b64 s[18:19], s[10:11]
	s_cbranch_execz .LBB2_56
; %bb.38:                               ;   in Loop: Header=BB2_21 Depth=1
	s_and_saveexec_b64 s[20:21], s[30:31]
	s_xor_b64 s[20:21], exec, s[20:21]
	s_cbranch_execz .LBB2_53
; %bb.39:                               ;   in Loop: Header=BB2_21 Depth=1
	s_and_saveexec_b64 s[46:47], s[12:13]
	s_cbranch_execz .LBB2_52
; %bb.40:                               ;   in Loop: Header=BB2_21 Depth=1
	s_mov_b64 s[50:51], exec
	v_mbcnt_lo_u32_b32 v0, s50, 0
	v_mbcnt_hi_u32_b32 v0, s51, v0
	v_cmp_eq_u32_e32 vcc, 0, v0
	s_waitcnt vmcnt(0) lgkmcnt(0)
	buffer_wbinvl1_vol
	s_and_saveexec_b64 s[48:49], vcc
	s_cbranch_execz .LBB2_42
; %bb.41:                               ;   in Loop: Header=BB2_21 Depth=1
	s_bcnt1_i32_b64 vcc_lo, s[50:51]
	v_mov_b32_e32 v54, vcc_lo
	ds_add_u64 v0, v[54:55]
	s_trap 2
.LBB2_42:                               ;   in Loop: Header=BB2_21 Depth=1
	s_or_b64 exec, exec, s[48:49]
	s_trap 2
	ds_read_b64 v[0:1], v0
	v_accvgpr_read_b32 v4, a30
	v_add_co_u32_e32 v42, vcc, v42, v4
	v_accvgpr_read_b32 v5, a41
	v_addc_co_u32_e32 v43, vcc, v43, v5, vcc
	s_waitcnt lgkmcnt(0)
	v_cmp_lt_u64_e32 vcc, v[0:1], v[42:43]
	s_and_saveexec_b64 s[48:49], vcc
	s_cbranch_execz .LBB2_51
; %bb.43:                               ;   in Loop: Header=BB2_21 Depth=1
	s_mov_b32 s60, 0
	s_mov_b64 s[50:51], 0
                                        ; implicit-def: $sgpr52_sgpr53
                                        ; implicit-def: $sgpr54_sgpr55
	s_branch .LBB2_45
.LBB2_44:                               ;   in Loop: Header=BB2_45 Depth=2
	s_or_b64 exec, exec, s[58:59]
	s_and_b64 vcc, exec, vcc
	s_or_b64 s[50:51], vcc, s[50:51]
	s_andn2_b64 vcc, s[52:53], exec
	s_and_b64 s[52:53], s[54:55], exec
	s_or_b64 s[52:53], vcc, s[52:53]
	s_andn2_b64 exec, exec, s[50:51]
	s_cbranch_execz .LBB2_49
.LBB2_45:                               ;   Parent Loop BB2_21 Depth=1
                                        ; =>  This Inner Loop Header: Depth=2
	s_add_i32 s60, s60, 1
	s_cmpk_lg_i32 s60, 0x2710
	s_cselect_b64 s[56:57], -1, 0
	s_and_b64 vcc, exec, s[56:57]
                                        ; implicit-def: $sgpr58_sgpr59
	s_cbranch_vccnz .LBB2_47
; %bb.46:                               ;   in Loop: Header=BB2_45 Depth=2
	s_trap 2
	ds_read_b64 v[0:1], v0
	s_andn2_b64 s[56:57], s[56:57], exec
	s_mov_b32 s60, 0
	s_mov_b64 s[58:59], -1
	s_waitcnt lgkmcnt(0)
	flat_load_dword v0, v[0:1] glc
	s_waitcnt vmcnt(0) lgkmcnt(0)
	buffer_invl2
	buffer_wbinvl1_vol
	v_cmp_eq_u32_e32 vcc, 0, v0
	s_and_b64 vcc, vcc, exec
	s_or_b64 s[56:57], s[56:57], vcc
.LBB2_47:                               ;   in Loop: Header=BB2_45 Depth=2
	s_andn2_b64 s[54:55], s[54:55], exec
	s_and_b64 s[58:59], s[58:59], exec
	s_mov_b64 vcc, -1
	s_or_b64 s[54:55], s[54:55], s[58:59]
	s_and_saveexec_b64 s[58:59], s[56:57]
	s_cbranch_execz .LBB2_44
; %bb.48:                               ;   in Loop: Header=BB2_45 Depth=2
	s_sleep 1
	s_trap 2
	ds_read_b64 v[0:1], v0
	s_andn2_b64 s[54:55], s[54:55], exec
	s_waitcnt lgkmcnt(0)
	v_cmp_ge_u64_e32 vcc, v[0:1], v[42:43]
	s_orn2_b64 vcc, vcc, exec
	s_branch .LBB2_44
.LBB2_49:                               ;   in Loop: Header=BB2_21 Depth=1
	s_or_b64 exec, exec, s[50:51]
	s_and_saveexec_b64 vcc, s[52:53]
	s_xor_b64 vcc, exec, vcc
	s_cbranch_execz .LBB2_51
; %bb.50:                               ;   in Loop: Header=BB2_21 Depth=1
	v_mov_b32_e32 v0, 1
	ds_write_b32 v0, v0
	s_trap 2
.LBB2_51:                               ;   in Loop: Header=BB2_21 Depth=1
	s_or_b64 exec, exec, s[48:49]
	;;#ASMSTART
	s_wakeup
	;;#ASMEND
.LBB2_52:                               ;   in Loop: Header=BB2_21 Depth=1
	s_or_b64 exec, exec, s[46:47]
.LBB2_53:                               ;   in Loop: Header=BB2_21 Depth=1
	s_andn2_saveexec_b64 s[20:21], s[20:21]
	s_cbranch_execz .LBB2_55
; %bb.54:                               ;   in Loop: Header=BB2_21 Depth=1
	s_waitcnt vmcnt(0) lgkmcnt(0)
	buffer_wbinvl1_vol
	s_barrier
.LBB2_55:                               ;   in Loop: Header=BB2_21 Depth=1
	s_or_b64 exec, exec, s[20:21]
.LBB2_56:                               ;   in Loop: Header=BB2_21 Depth=1
	s_or_b64 exec, exec, s[18:19]
	v_accvgpr_read_b32 v0, a32
	v_accvgpr_write_b32 a25, v19
	v_sub_u32_e32 v62, v3, v0
	v_accvgpr_write_b32 a24, v18
	v_cmp_lt_i32_e64 s[18:19], 0, v62
	v_and_b32_e32 v1, 7, v16
	v_accvgpr_read_b32 v0, a2
	s_and_saveexec_b64 s[20:21], s[18:19]
	s_cbranch_execz .LBB2_64
; %bb.57:                               ;   in Loop: Header=BB2_21 Depth=1
	v_accvgpr_read_b32 v22, a36
	s_waitcnt vmcnt(0) lgkmcnt(0)
	v_ashrrev_i32_e32 v0, 31, v2
	v_mov_b32_e32 v3, v16
	v_add_co_u32_e64 v8, vcc, 0, 0
	v_accvgpr_read_b32 v21, a3
	v_accvgpr_read_b32 v23, a37
	v_accvgpr_read_b32 v9, a26
	v_mul_lo_u32 v4, v1, s62
	v_addc_co_u32_e32 v3, vcc, 1, v3, vcc
	v_mad_u64_u32 v[18:19], vcc, v21, v2, v[22:23]
	v_mul_lo_u32 v9, v9, v2
	v_mul_lo_u32 v0, v21, v0
	v_ashrrev_i32_e32 v5, 31, v4
	v_add3_u32 v19, v9, v19, v0
	v_mul_lo_u32 v0, v21, v2
	v_add_lshl_u32 v9, v22, v0, 3
	v_lshlrev_b64 v[4:5], 4, v[4:5]
	v_accvgpr_read_b32 v0, a39
	v_add_co_u32_e32 v24, vcc, v0, v4
	v_accvgpr_read_b32 v0, a40
	v_addc_co_u32_e32 v25, vcc, v0, v5, vcc
	s_mov_b64 s[46:47], 0
	v_mov_b32_e32 v21, v62
	v_accvgpr_read_b32 v0, a2
	s_branch .LBB2_59
.LBB2_58:                               ;   in Loop: Header=BB2_59 Depth=2
	s_or_b64 exec, exec, s[48:49]
	v_add_co_u32_e32 v18, vcc, v18, v56
	s_waitcnt vmcnt(0)
	v_alignbit_b32 v2, v23, v2, v9
	v_alignbit_b32 v4, v22, v23, v9
	v_sub_u32_e32 v21, v21, v56
	v_addc_co_u32_e32 v19, vcc, v19, v57, vcc
	v_or_b32_e32 v2, v8, v2
	v_or_b32_e32 v4, v8, v4
	v_mov_b32_e32 v5, v3
	v_cmp_gt_i32_e32 vcc, 1, v21
	global_store_dwordx4 v[24:25], v[2:5], off
	s_or_b64 s[46:47], vcc, s[46:47]
	v_add_co_u32_e32 v24, vcc, v24, v58
	v_add_u32_e32 v0, v0, v20
	v_add_u32_e32 v9, v9, v31
	v_addc_co_u32_e32 v25, vcc, v25, v59, vcc
	s_andn2_b64 exec, exec, s[46:47]
	s_cbranch_execz .LBB2_63
.LBB2_59:                               ;   Parent Loop BB2_21 Depth=1
                                        ; =>  This Inner Loop Header: Depth=2
	v_and_b32_e32 v4, -4, v18
	v_mov_b32_e32 v5, v19
	global_load_dword v2, v[4:5], off glc slc
	v_min_u32_e32 v23, 8, v21
	v_and_b32_e32 v26, 3, v18
	v_add_co_u32_e32 v26, vcc, v26, v23
	v_addc_co_u32_e64 v27, vcc, 0, 0, vcc
	v_mov_b32_e32 v22, 0
	v_cmp_lt_u64_e32 vcc, 4, v[26:27]
	v_mov_b32_e32 v23, 0
	s_and_saveexec_b64 s[48:49], vcc
	s_cbranch_execz .LBB2_61
; %bb.60:                               ;   in Loop: Header=BB2_59 Depth=2
	global_load_dword v23, v[4:5], off offset:4 glc slc
.LBB2_61:                               ;   in Loop: Header=BB2_59 Depth=2
	s_or_b64 exec, exec, s[48:49]
	v_cmp_lt_u64_e32 vcc, 8, v[26:27]
	s_and_saveexec_b64 s[48:49], vcc
	s_cbranch_execz .LBB2_58
; %bb.62:                               ;   in Loop: Header=BB2_59 Depth=2
	global_load_dword v22, v[4:5], off offset:8 glc slc
	s_branch .LBB2_58
.LBB2_63:                               ;   in Loop: Header=BB2_21 Depth=1
	s_or_b64 exec, exec, s[46:47]
.LBB2_64:                               ;   in Loop: Header=BB2_21 Depth=1
	s_or_b64 exec, exec, s[20:21]
	v_and_b32_e32 v54, 0x7ffffff8, v16
	v_cmp_eq_u64_e32 vcc, s[36:37], v[54:55]
	v_cmp_gt_i32_e64 s[20:21], s62, v0
	s_and_b64 s[20:21], vcc, s[20:21]
	s_and_saveexec_b64 s[46:47], s[20:21]
	s_cbranch_execz .LBB2_67
; %bb.65:                               ;   in Loop: Header=BB2_21 Depth=1
	v_mul_lo_u32 v4, v1, s62
	v_mov_b32_e32 v1, v16
	s_waitcnt vmcnt(0) lgkmcnt(0)
	v_add_co_u32_e64 v2, vcc, 0, 0
	v_ashrrev_i32_e32 v5, 31, v4
	v_addc_co_u32_e32 v3, vcc, 1, v1, vcc
	v_ashrrev_i32_e32 v1, 31, v0
	v_lshlrev_b64 v[8:9], 4, v[0:1]
	v_lshlrev_b64 v[4:5], 4, v[4:5]
	v_add_co_u32_e32 v1, vcc, v8, v4
	v_addc_co_u32_e32 v4, vcc, v9, v5, vcc
	v_accvgpr_read_b32 v8, a20
	v_accvgpr_read_b32 v9, a21
	v_add_co_u32_e32 v18, vcc, v8, v1
	v_addc_co_u32_e32 v19, vcc, v9, v4, vcc
	s_mov_b64 s[48:49], 0
.LBB2_66:                               ;   Parent Loop BB2_21 Depth=1
                                        ; =>  This Inner Loop Header: Depth=2
	v_mov_b32_e32 v4, v2
	v_mov_b32_e32 v5, v3
	v_add_u32_e32 v0, v0, v20
	global_store_dwordx4 v[18:19], v[2:5], off
	v_cmp_le_i32_e32 vcc, s62, v0
	v_add_co_u32_e64 v18, s[20:21], v18, v58
	s_or_b64 s[48:49], vcc, s[48:49]
	v_addc_co_u32_e64 v19, vcc, v19, v59, s[20:21]
	s_andn2_b64 exec, exec, s[48:49]
	s_cbranch_execnz .LBB2_66
.LBB2_67:                               ;   in Loop: Header=BB2_21 Depth=1
	s_or_b64 exec, exec, s[46:47]
	v_accvgpr_read_b32 v0, a8
	v_accvgpr_read_b32 v1, a9
	s_waitcnt vmcnt(0) lgkmcnt(0)
	v_add_co_u32_e32 v2, vcc, v36, v0
	v_addc_co_u32_e32 v1, vcc, v37, v1, vcc
	v_add_co_u32_e64 v28, s[20:21], 1, v16
	v_accvgpr_write_b32 a43, v37
	s_andn2_b64 vcc, exec, s[34:35]
	v_addc_co_u32_e64 v29, s[20:21], 0, v17, s[20:21]
	v_accvgpr_write_b32 a42, v36
	s_cbranch_vccnz .LBB2_533
; %bb.68:                               ;   in Loop: Header=BB2_21 Depth=1
	v_accvgpr_read_b32 v0, a31
	v_accvgpr_write_b32 a45, v2
	v_add_co_u32_e32 v2, vcc, v0, v2
	v_accvgpr_read_b32 v0, a33
	v_addc_co_u32_e32 v3, vcc, v0, v1, vcc
	v_accvgpr_write_b32 a49, v3
	v_accvgpr_write_b32 a46, v1
	;; [unrolled: 1-line block ×3, first 2 shown]
	v_add_u16_e32 v31, 1, v16
	s_mov_b32 s78, 2
	s_branch .LBB2_70
.LBB2_69:                               ;   in Loop: Header=BB2_70 Depth=2
	s_or_b64 exec, exec, s[46:47]
	v_add_co_u32_e32 v34, vcc, 1, v34
	v_addc_co_u32_e32 v35, vcc, 0, v35, vcc
	s_add_i32 s78, s78, 1
	v_add_co_u32_e32 v28, vcc, 1, v28
	v_addc_co_u32_e32 v29, vcc, 0, v29, vcc
	s_cmp_eq_u32 s78, s22
	v_add_u16_e32 v31, 1, v31
	s_cbranch_scc1 .LBB2_534
.LBB2_70:                               ;   Parent Loop BB2_21 Depth=1
                                        ; =>  This Loop Header: Depth=2
                                        ;       Child Loop BB2_85 Depth 3
                                        ;       Child Loop BB2_101 Depth 3
	;; [unrolled: 1-line block ×3, first 2 shown]
                                        ;         Child Loop BB2_122 Depth 4
                                        ;       Child Loop BB2_522 Depth 3
                                        ;       Child Loop BB2_78 Depth 3
	s_sub_i32 s20, s22, s78
	s_ashr_i32 s21, s20, 31
	s_lshl_b64 s[20:21], s[20:21], 2
	v_mov_b32_e32 v1, s21
	v_add_co_u32_e32 v0, vcc, s20, v60
	v_addc_co_u32_e32 v1, vcc, v61, v1, vcc
	s_waitcnt vmcnt(0) lgkmcnt(0)
	flat_load_dword v2, v[0:1]
	s_and_saveexec_b64 s[20:21], s[6:7]
	s_cbranch_execnz .LBB2_79
; %bb.71:                               ;   in Loop: Header=BB2_70 Depth=2
	s_or_b64 exec, exec, s[20:21]
	s_and_saveexec_b64 s[20:21], s[10:11]
	s_cbranch_execnz .LBB2_94
.LBB2_72:                               ;   in Loop: Header=BB2_70 Depth=2
	s_or_b64 exec, exec, s[20:21]
	v_accvgpr_read_b32 v0, a2
	s_and_saveexec_b64 s[46:47], s[18:19]
	s_cbranch_execnz .LBB2_112
.LBB2_73:                               ;   in Loop: Header=BB2_70 Depth=2
	s_or_b64 exec, exec, s[46:47]
	s_and_saveexec_b64 s[20:21], s[10:11]
	s_cbranch_execnz .LBB2_515
.LBB2_74:                               ;   in Loop: Header=BB2_70 Depth=2
	s_or_b64 exec, exec, s[20:21]
	s_and_saveexec_b64 s[20:21], s[16:17]
	s_cbranch_execz .LBB2_76
.LBB2_75:                               ;   in Loop: Header=BB2_70 Depth=2
	v_add_co_u32_e32 v38, vcc, 1, v38
	s_waitcnt vmcnt(0) lgkmcnt(0)
	v_accvgpr_read_b32 v2, a22
	v_addc_co_u32_e32 v39, vcc, 0, v39, vcc
	v_accvgpr_read_b32 v3, a23
	flat_store_dwordx2 v[2:3], v[38:39]
.LBB2_76:                               ;   in Loop: Header=BB2_70 Depth=2
	s_or_b64 exec, exec, s[20:21]
	v_and_b32_e32 v54, 0x7ffffff8, v28
	v_cmp_eq_u64_e32 vcc, s[36:37], v[54:55]
	v_cmp_gt_i32_e64 s[20:21], s62, v0
	s_and_b64 s[20:21], vcc, s[20:21]
	s_and_saveexec_b64 s[46:47], s[20:21]
	s_cbranch_execz .LBB2_69
; %bb.77:                               ;   in Loop: Header=BB2_70 Depth=2
	v_and_b32_e32 v1, 7, v31
	s_waitcnt vmcnt(0) lgkmcnt(0)
	v_mul_lo_u32 v2, s62, v1
	v_ashrrev_i32_e32 v3, 31, v2
	v_lshlrev_b64 v[4:5], 4, v[2:3]
	v_mov_b32_e32 v1, v28
	v_add_co_u32_e64 v2, vcc, 0, 0
	v_addc_co_u32_e32 v3, vcc, 1, v1, vcc
	v_ashrrev_i32_e32 v1, 31, v0
	v_lshlrev_b64 v[8:9], 4, v[0:1]
	v_add_co_u32_e32 v1, vcc, v8, v4
	v_addc_co_u32_e32 v4, vcc, v9, v5, vcc
	v_accvgpr_read_b32 v8, a20
	v_accvgpr_read_b32 v9, a21
	v_add_co_u32_e32 v16, vcc, v8, v1
	v_addc_co_u32_e32 v17, vcc, v9, v4, vcc
	s_mov_b64 s[48:49], 0
.LBB2_78:                               ;   Parent Loop BB2_21 Depth=1
                                        ;     Parent Loop BB2_70 Depth=2
                                        ; =>    This Inner Loop Header: Depth=3
	v_mov_b32_e32 v4, v2
	v_mov_b32_e32 v5, v3
	v_add_u32_e32 v0, v0, v20
	global_store_dwordx4 v[16:17], v[2:5], off
	v_cmp_le_i32_e32 vcc, s62, v0
	v_add_co_u32_e64 v16, s[20:21], v16, v58
	s_or_b64 s[48:49], vcc, s[48:49]
	v_addc_co_u32_e64 v17, vcc, v17, v59, s[20:21]
	s_andn2_b64 exec, exec, s[48:49]
	s_cbranch_execnz .LBB2_78
	s_branch .LBB2_69
.LBB2_79:                               ;   in Loop: Header=BB2_70 Depth=2
	v_add_co_u32_e32 v0, vcc, 1, v14
	v_addc_co_u32_e32 v1, vcc, 0, v15, vcc
	v_add_co_u32_e32 v4, vcc, 8, v52
	v_addc_co_u32_e32 v5, vcc, 0, v53, vcc
	v_cmp_lt_u64_e32 vcc, v[4:5], v[0:1]
	s_and_saveexec_b64 s[46:47], vcc
	s_cbranch_execz .LBB2_91
; %bb.80:                               ;   in Loop: Header=BB2_70 Depth=2
	s_sleep 1
	flat_load_dwordx2 v[52:53], v[32:33] glc
	v_cmp_eq_u32_e32 vcc, 0, v49
	s_and_saveexec_b64 s[48:49], vcc
	s_cbranch_execz .LBB2_90
; %bb.81:                               ;   in Loop: Header=BB2_70 Depth=2
	v_cndmask_b32_e64 v3, 0, 1, vcc
	s_mov_b64 s[50:51], 0
                                        ; implicit-def: $sgpr52_sgpr53
	s_branch .LBB2_85
.LBB2_82:                               ;   in Loop: Header=BB2_85 Depth=3
	s_or_b64 exec, exec, s[60:61]
	s_orn2_b64 s[58:59], s[58:59], exec
.LBB2_83:                               ;   in Loop: Header=BB2_85 Depth=3
	s_or_b64 exec, exec, s[56:57]
	s_xor_b64 vcc, s[58:59], -1
	s_andn2_b64 s[52:53], s[52:53], exec
	s_and_b64 vcc, vcc, exec
	s_or_b64 s[52:53], s[52:53], vcc
.LBB2_84:                               ;   in Loop: Header=BB2_85 Depth=3
	s_or_b64 exec, exec, s[54:55]
	s_and_b64 vcc, exec, s[52:53]
	s_or_b64 s[50:51], vcc, s[50:51]
	s_andn2_b64 exec, exec, s[50:51]
	s_cbranch_execz .LBB2_89
.LBB2_85:                               ;   Parent Loop BB2_21 Depth=1
                                        ;     Parent Loop BB2_70 Depth=2
                                        ; =>    This Inner Loop Header: Depth=3
	s_waitcnt vmcnt(0) lgkmcnt(0)
	v_add_co_u32_e32 v4, vcc, 8, v52
	v_addc_co_u32_e32 v5, vcc, 0, v53, vcc
	v_cmp_lt_u64_e32 vcc, v[4:5], v[0:1]
	v_mov_b32_e32 v49, 0
	s_or_b64 s[52:53], s[52:53], exec
	s_and_saveexec_b64 s[54:55], vcc
	s_cbranch_execz .LBB2_84
; %bb.86:                               ;   in Loop: Header=BB2_85 Depth=3
	s_sleep 1
	flat_load_dwordx2 v[52:53], v[32:33] glc
	v_add_u32_e32 v3, 1, v3
	v_cmp_eq_u32_e32 vcc, s63, v3
	s_mov_b64 s[58:59], -1
	v_mov_b32_e32 v49, 0
	s_and_saveexec_b64 s[56:57], vcc
	s_cbranch_execz .LBB2_83
; %bb.87:                               ;   in Loop: Header=BB2_85 Depth=3
	s_trap 2
	ds_read_b64 v[4:5], v0
	v_mov_b32_e32 v3, 0
	v_mov_b32_e32 v49, 0
	s_waitcnt vmcnt(0) lgkmcnt(0)
	flat_load_dword v4, v[4:5] glc
	s_waitcnt vmcnt(0) lgkmcnt(0)
	buffer_invl2
	buffer_wbinvl1_vol
	v_cmp_ne_u32_e32 vcc, 0, v4
	s_and_saveexec_b64 s[60:61], vcc
	s_cbranch_execz .LBB2_82
; %bb.88:                               ;   in Loop: Header=BB2_85 Depth=3
	v_mov_b32_e32 v49, 1
	s_xor_b64 s[58:59], exec, -1
	ds_write_b32 v0, v4
	s_trap 2
	s_branch .LBB2_82
.LBB2_89:                               ;   in Loop: Header=BB2_70 Depth=2
	s_or_b64 exec, exec, s[50:51]
.LBB2_90:                               ;   in Loop: Header=BB2_70 Depth=2
	s_or_b64 exec, exec, s[48:49]
.LBB2_91:                               ;   in Loop: Header=BB2_70 Depth=2
	s_or_b64 exec, exec, s[46:47]
	s_and_saveexec_b64 s[46:47], s[8:9]
	s_cbranch_execz .LBB2_93
; %bb.92:                               ;   in Loop: Header=BB2_70 Depth=2
	v_and_b32_e32 v54, 0x7ffffff8, v14
	v_mov_b32_e32 v3, s23
	v_cmp_eq_u64_e32 vcc, s[36:37], v[54:55]
	v_accvgpr_read_b32 v4, a44
	v_cndmask_b32_e32 v4, v4, v3, vcc
	v_and_b32_e32 v3, 7, v14
	v_ashrrev_i32_e32 v5, 31, v4
	v_mad_u64_u32 v[8:9], vcc, v3, 24, v[12:13]
	flat_store_dwordx2 v[8:9], v[4:5] offset:8
	s_waitcnt vmcnt(0)
.LBB2_93:                               ;   in Loop: Header=BB2_70 Depth=2
	s_or_b64 exec, exec, s[46:47]
	v_pk_mov_b32 v[14:15], v[0:1], v[0:1] op_sel:[0,1]
	s_or_b64 exec, exec, s[20:21]
	s_and_saveexec_b64 s[20:21], s[10:11]
	s_cbranch_execz .LBB2_72
.LBB2_94:                               ;   in Loop: Header=BB2_70 Depth=2
	s_and_saveexec_b64 vcc, s[30:31]
	s_xor_b64 s[46:47], exec, vcc
	s_cbranch_execz .LBB2_109
; %bb.95:                               ;   in Loop: Header=BB2_70 Depth=2
	s_and_saveexec_b64 s[48:49], s[12:13]
	s_cbranch_execz .LBB2_108
; %bb.96:                               ;   in Loop: Header=BB2_70 Depth=2
	s_mov_b64 s[52:53], exec
	v_mbcnt_lo_u32_b32 v0, s52, 0
	v_mbcnt_hi_u32_b32 v0, s53, v0
	v_cmp_eq_u32_e32 vcc, 0, v0
	s_waitcnt vmcnt(0) lgkmcnt(0)
	buffer_wbinvl1_vol
	s_and_saveexec_b64 s[50:51], vcc
	s_cbranch_execz .LBB2_98
; %bb.97:                               ;   in Loop: Header=BB2_70 Depth=2
	s_bcnt1_i32_b64 vcc_lo, s[52:53]
	v_mov_b32_e32 v54, vcc_lo
	ds_add_u64 v0, v[54:55]
	s_trap 2
.LBB2_98:                               ;   in Loop: Header=BB2_70 Depth=2
	s_or_b64 exec, exec, s[50:51]
	s_trap 2
	ds_read_b64 v[0:1], v0
	v_accvgpr_read_b32 v4, a30
	v_add_co_u32_e32 v42, vcc, v42, v4
	v_accvgpr_read_b32 v3, a41
	v_addc_co_u32_e32 v43, vcc, v43, v3, vcc
	s_waitcnt lgkmcnt(0)
	v_cmp_lt_u64_e32 vcc, v[0:1], v[42:43]
	s_and_saveexec_b64 s[50:51], vcc
	s_cbranch_execz .LBB2_107
; %bb.99:                               ;   in Loop: Header=BB2_70 Depth=2
	s_mov_b32 s79, 0
	s_mov_b64 s[52:53], 0
                                        ; implicit-def: $sgpr54_sgpr55
                                        ; implicit-def: $sgpr56_sgpr57
	s_branch .LBB2_101
.LBB2_100:                              ;   in Loop: Header=BB2_101 Depth=3
	s_or_b64 exec, exec, s[60:61]
	s_and_b64 vcc, exec, vcc
	s_or_b64 s[52:53], vcc, s[52:53]
	s_andn2_b64 vcc, s[54:55], exec
	s_and_b64 s[54:55], s[56:57], exec
	s_or_b64 s[54:55], vcc, s[54:55]
	s_andn2_b64 exec, exec, s[52:53]
	s_cbranch_execz .LBB2_105
.LBB2_101:                              ;   Parent Loop BB2_21 Depth=1
                                        ;     Parent Loop BB2_70 Depth=2
                                        ; =>    This Inner Loop Header: Depth=3
	s_add_i32 s79, s79, 1
	s_cmpk_lg_i32 s79, 0x2710
	s_cselect_b64 s[58:59], -1, 0
	s_and_b64 vcc, exec, s[58:59]
                                        ; implicit-def: $sgpr60_sgpr61
	s_cbranch_vccnz .LBB2_103
; %bb.102:                              ;   in Loop: Header=BB2_101 Depth=3
	s_trap 2
	ds_read_b64 v[0:1], v0
	s_andn2_b64 s[58:59], s[58:59], exec
	s_mov_b32 s79, 0
	s_mov_b64 s[60:61], -1
	s_waitcnt lgkmcnt(0)
	flat_load_dword v0, v[0:1] glc
	s_waitcnt vmcnt(0) lgkmcnt(0)
	buffer_invl2
	buffer_wbinvl1_vol
	v_cmp_eq_u32_e32 vcc, 0, v0
	s_and_b64 vcc, vcc, exec
	s_or_b64 s[58:59], s[58:59], vcc
.LBB2_103:                              ;   in Loop: Header=BB2_101 Depth=3
	s_andn2_b64 s[56:57], s[56:57], exec
	s_and_b64 s[60:61], s[60:61], exec
	s_mov_b64 vcc, -1
	s_or_b64 s[56:57], s[56:57], s[60:61]
	s_and_saveexec_b64 s[60:61], s[58:59]
	s_cbranch_execz .LBB2_100
; %bb.104:                              ;   in Loop: Header=BB2_101 Depth=3
	s_sleep 1
	s_trap 2
	ds_read_b64 v[0:1], v0
	s_andn2_b64 s[56:57], s[56:57], exec
	s_waitcnt lgkmcnt(0)
	v_cmp_ge_u64_e32 vcc, v[0:1], v[42:43]
	s_orn2_b64 vcc, vcc, exec
	s_branch .LBB2_100
.LBB2_105:                              ;   in Loop: Header=BB2_70 Depth=2
	s_or_b64 exec, exec, s[52:53]
	s_and_saveexec_b64 vcc, s[54:55]
	s_xor_b64 vcc, exec, vcc
	s_cbranch_execz .LBB2_107
; %bb.106:                              ;   in Loop: Header=BB2_70 Depth=2
	v_mov_b32_e32 v0, 1
	ds_write_b32 v0, v0
	s_trap 2
.LBB2_107:                              ;   in Loop: Header=BB2_70 Depth=2
	s_or_b64 exec, exec, s[50:51]
	;;#ASMSTART
	s_wakeup
	;;#ASMEND
.LBB2_108:                              ;   in Loop: Header=BB2_70 Depth=2
	s_or_b64 exec, exec, s[48:49]
.LBB2_109:                              ;   in Loop: Header=BB2_70 Depth=2
	s_andn2_saveexec_b64 vcc, s[46:47]
	s_cbranch_execz .LBB2_111
; %bb.110:                              ;   in Loop: Header=BB2_70 Depth=2
	s_waitcnt vmcnt(0) lgkmcnt(0)
	buffer_wbinvl1_vol
	s_barrier
.LBB2_111:                              ;   in Loop: Header=BB2_70 Depth=2
	s_or_b64 exec, exec, vcc
	s_or_b64 exec, exec, s[20:21]
	v_accvgpr_read_b32 v0, a2
	s_and_saveexec_b64 s[46:47], s[18:19]
	s_cbranch_execz .LBB2_73
.LBB2_112:                              ;   in Loop: Header=BB2_70 Depth=2
	v_accvgpr_read_b32 v4, a48
	s_waitcnt vmcnt(0) lgkmcnt(0)
	v_ashrrev_i32_e32 v0, 31, v2
	v_accvgpr_read_b32 v3, a3
	v_accvgpr_read_b32 v5, a49
	;; [unrolled: 1-line block ×3, first 2 shown]
	v_mad_u64_u32 v[44:45], s[20:21], v3, v2, v[4:5]
	v_mul_lo_u32 v1, v1, v2
	v_mul_lo_u32 v0, v3, v0
	v_add3_u32 v45, v1, v45, v0
	v_and_b32_e32 v0, 7, v34
	v_mul_lo_u32 v0, v0, s62
	v_ashrrev_i32_e32 v1, 31, v0
	v_lshlrev_b64 v[0:1], 4, v[0:1]
	v_accvgpr_read_b32 v2, a18
	v_add_co_u32_e32 v8, vcc, v2, v0
	v_and_b32_e32 v0, 7, v28
	v_accvgpr_read_b32 v3, a19
	v_mul_lo_u32 v0, v0, s62
	v_addc_co_u32_e32 v9, vcc, v3, v1, vcc
	v_ashrrev_i32_e32 v1, 31, v0
	v_lshlrev_b64 v[0:1], 4, v[0:1]
	v_accvgpr_read_b32 v2, a20
	v_accvgpr_write_b32 a6, v60
	v_accvgpr_read_b32 v3, a21
	v_add_co_u32_e32 v33, vcc, v2, v0
	v_accvgpr_write_b32 a7, v61
	v_addc_co_u32_e32 v60, vcc, v3, v1, vcc
	v_mov_b32_e32 v1, v28
	v_add_co_u32_e64 v61, vcc, 0, 0
	v_add_u32_e32 v32, 1, v34
	v_addc_co_u32_e32 v3, vcc, 1, v1, vcc
	s_mov_b64 s[48:49], 0
	v_mov_b32_e32 v21, v62
	v_accvgpr_read_b32 v0, a2
	s_branch .LBB2_114
.LBB2_113:                              ;   in Loop: Header=BB2_114 Depth=3
	s_or_b64 exec, exec, s[20:21]
	v_lshlrev_b32_e32 v17, 8, v26
	v_add_co_u32_e32 v44, vcc, v44, v56
	v_perm_b32 v1, v17, v1, s73
	v_lshlrev_b32_e32 v17, 8, v25
	v_addc_co_u32_e32 v45, vcc, v45, v57, vcc
	v_perm_b32 v18, v17, v22, s73
	v_lshlrev_b32_e32 v17, 16, v36
	v_and_b32_e32 v2, 0xff, v27
	v_perm_b32 v19, v16, v17, s74
	v_add_co_u32_e32 v16, vcc, v33, v4
	v_lshlrev_b32_e32 v2, 16, v2
	v_addc_co_u32_e32 v17, vcc, v60, v5, vcc
	v_sub_u32_e32 v21, v21, v56
	v_lshl_or_b32 v2, v23, 24, v2
	v_cmp_gt_i32_e32 vcc, 1, v21
	v_or3_b32 v2, v2, v1, v61
	v_or3_b32 v4, v19, v18, v61
	v_mov_b32_e32 v5, v3
	s_or_b64 s[48:49], vcc, s[48:49]
	v_add_u32_e32 v0, v0, v20
	global_store_dwordx4 v[16:17], v[2:5], off
	s_andn2_b64 exec, exec, s[48:49]
	s_cbranch_execz .LBB2_514
.LBB2_114:                              ;   Parent Loop BB2_21 Depth=1
                                        ;     Parent Loop BB2_70 Depth=2
                                        ; =>    This Loop Header: Depth=3
                                        ;         Child Loop BB2_122 Depth 4
	v_and_b32_e32 v4, -4, v44
	v_mov_b32_e32 v5, v45
	global_load_dword v2, v[4:5], off glc slc
	v_min_u32_e32 v1, 8, v21
	v_and_b32_e32 v16, 3, v44
	v_add_co_u32_e32 v16, vcc, v16, v1
	v_addc_co_u32_e64 v17, s[20:21], 0, 0, vcc
	v_mov_b32_e32 v46, 0
	v_cmp_lt_u64_e32 vcc, 4, v[16:17]
	v_mov_b32_e32 v22, 0
	s_and_saveexec_b64 s[20:21], vcc
	s_cbranch_execz .LBB2_116
; %bb.115:                              ;   in Loop: Header=BB2_114 Depth=3
	global_load_dword v22, v[4:5], off offset:4 glc slc
.LBB2_116:                              ;   in Loop: Header=BB2_114 Depth=3
	s_or_b64 exec, exec, s[20:21]
	v_cmp_lt_u64_e32 vcc, 8, v[16:17]
	s_and_saveexec_b64 s[20:21], vcc
	s_cbranch_execz .LBB2_118
; %bb.117:                              ;   in Loop: Header=BB2_114 Depth=3
	global_load_dword v46, v[4:5], off offset:8 glc slc
.LBB2_118:                              ;   in Loop: Header=BB2_114 Depth=3
	s_or_b64 exec, exec, s[20:21]
	v_ashrrev_i32_e32 v1, 31, v0
	v_lshlrev_b64 v[4:5], 4, v[0:1]
	v_add_co_u32_e32 v40, vcc, v8, v4
	v_addc_co_u32_e32 v41, vcc, v9, v5, vcc
	global_load_dwordx4 v[16:19], v[40:41], off glc slc
	v_cmp_eq_u32_e32 vcc, 0, v49
	s_and_saveexec_b64 s[50:51], vcc
	s_cbranch_execz .LBB2_130
; %bb.119:                              ;   in Loop: Header=BB2_114 Depth=3
	s_waitcnt vmcnt(0)
	v_cmp_ne_u32_e32 vcc, v32, v17
	v_cmp_ne_u32_e64 s[20:21], v32, v19
	s_or_b64 s[20:21], vcc, s[20:21]
	v_mov_b32_e32 v49, 0
	s_and_saveexec_b64 s[52:53], s[20:21]
	s_cbranch_execz .LBB2_129
; %bb.120:                              ;   in Loop: Header=BB2_114 Depth=3
	s_mov_b32 s58, 1
	s_mov_b64 s[54:55], 0
	v_mov_b32_e32 v49, 0
	s_branch .LBB2_122
.LBB2_121:                              ;   in Loop: Header=BB2_122 Depth=4
	s_or_b64 exec, exec, s[56:57]
	s_and_b64 s[20:21], exec, s[20:21]
	s_or_b64 s[54:55], s[20:21], s[54:55]
	s_andn2_b64 exec, exec, s[54:55]
	s_cbranch_execz .LBB2_128
.LBB2_122:                              ;   Parent Loop BB2_21 Depth=1
                                        ;     Parent Loop BB2_70 Depth=2
                                        ;       Parent Loop BB2_114 Depth=3
                                        ; =>      This Inner Loop Header: Depth=4
	global_load_dwordx4 v[16:19], v[40:41], off glc slc
	s_add_i32 s58, s58, 1
	s_cmpk_lg_i32 s58, 0x2710
	s_cbranch_scc1 .LBB2_126
; %bb.123:                              ;   in Loop: Header=BB2_122 Depth=4
	s_trap 2
	ds_read_b64 v[24:25], v0
	s_waitcnt vmcnt(0) lgkmcnt(0)
	flat_load_dword v1, v[24:25] glc
	s_waitcnt vmcnt(0) lgkmcnt(0)
	buffer_invl2
	buffer_wbinvl1_vol
	v_cmp_ne_u32_e32 vcc, 0, v1
	s_and_saveexec_b64 s[20:21], vcc
	s_cbranch_execz .LBB2_125
; %bb.124:                              ;   in Loop: Header=BB2_122 Depth=4
	v_mov_b32_e32 v49, 1
	ds_write_b32 v0, v1
	s_trap 2
.LBB2_125:                              ;   in Loop: Header=BB2_122 Depth=4
	s_or_b64 exec, exec, s[20:21]
	s_mov_b32 s58, 0
	v_mov_b32_e32 v1, v49
	v_cmp_eq_u32_e32 vcc, 0, v1
	s_mov_b64 s[20:21], -1
	s_and_saveexec_b64 s[56:57], vcc
	s_cbranch_execz .LBB2_121
	s_branch .LBB2_127
.LBB2_126:                              ;   in Loop: Header=BB2_122 Depth=4
	v_mov_b32_e32 v1, 0
	v_cmp_eq_u32_e32 vcc, 0, v1
	s_mov_b64 s[20:21], -1
	s_and_saveexec_b64 s[56:57], vcc
	s_cbranch_execz .LBB2_121
.LBB2_127:                              ;   in Loop: Header=BB2_122 Depth=4
	s_waitcnt vmcnt(0)
	v_cmp_eq_u32_e32 vcc, v32, v17
	v_cmp_eq_u32_e64 s[20:21], v32, v19
	s_and_b64 s[20:21], vcc, s[20:21]
	s_orn2_b64 s[20:21], s[20:21], exec
	s_branch .LBB2_121
.LBB2_128:                              ;   in Loop: Header=BB2_114 Depth=3
	s_or_b64 exec, exec, s[54:55]
.LBB2_129:                              ;   in Loop: Header=BB2_114 Depth=3
	s_or_b64 exec, exec, s[52:53]
.LBB2_130:                              ;   in Loop: Header=BB2_114 Depth=3
	s_or_b64 exec, exec, s[50:51]
	v_lshlrev_b32_e32 v36, 3, v44
	s_waitcnt vmcnt(1)
	v_alignbit_b32 v54, v22, v2, v36
	s_waitcnt vmcnt(0)
	v_cmp_ne_u16_sdwa s[20:21], v16, v55 src0_sel:BYTE_0 src1_sel:DWORD
                                        ; implicit-def: $vgpr23
	s_and_saveexec_b64 vcc, s[14:15]
	s_xor_b64 s[50:51], exec, vcc
	s_cbranch_execz .LBB2_148
; %bb.131:                              ;   in Loop: Header=BB2_114 Depth=3
	v_mov_b32_e32 v2, 0
	v_mov_b32_e32 v1, 0
	s_and_saveexec_b64 s[52:53], s[20:21]
	s_cbranch_execz .LBB2_139
; %bb.132:                              ;   in Loop: Header=BB2_114 Depth=3
	v_cmp_ne_u16_sdwa vcc, sext(v16), s65 src0_sel:BYTE_0 src1_sel:DWORD
	v_bfrev_b32_e32 v1, 1
	s_and_saveexec_b64 s[54:55], vcc
	s_cbranch_execz .LBB2_138
; %bb.133:                              ;   in Loop: Header=BB2_114 Depth=3
	v_and_b32_e32 v1, 0x7c, v16
	v_and_b32_e32 v23, 3, v16
	v_cmp_ne_u32_e32 vcc, s66, v1
                                        ; implicit-def: $vgpr1
	s_and_saveexec_b64 s[56:57], vcc
	s_xor_b64 s[56:57], exec, s[56:57]
	s_cbranch_execz .LBB2_135
; %bb.134:                              ;   in Loop: Header=BB2_114 Depth=3
	v_ffbh_u32_e32 v24, v23
	v_min_u32_e32 v26, 32, v24
	v_subrev_u32_e32 v24, 29, v26
	v_bfe_u32 v1, v16, 2, 5
	v_lshlrev_b64 v[24:25], v24, v[16:17]
	v_sub_u32_e32 v25, 30, v26
	v_cmp_eq_u32_e32 vcc, 0, v1
	v_and_b32_e32 v24, 3, v24
	v_cndmask_b32_e32 v1, v1, v25, vcc
	v_cndmask_b32_e32 v23, v23, v24, vcc
	v_lshlrev_b32_e32 v24, 24, v16
	v_lshl_add_u32 v1, v1, 23, v47
	v_and_or_b32 v1, v24, s67, v1
	v_lshl_or_b32 v1, v23, 21, v1
                                        ; implicit-def: $vgpr23
.LBB2_135:                              ;   in Loop: Header=BB2_114 Depth=3
	s_andn2_saveexec_b64 s[56:57], s[56:57]
; %bb.136:                              ;   in Loop: Header=BB2_114 Depth=3
	v_cmp_gt_i16_sdwa vcc, sext(v16), v6 src0_sel:BYTE_0 src1_sel:DWORD
	v_cndmask_b32_e32 v1, v7, v10, vcc
	v_cmp_eq_u32_e32 vcc, 0, v23
	v_cndmask_b32_e32 v1, v11, v1, vcc
; %bb.137:                              ;   in Loop: Header=BB2_114 Depth=3
	s_or_b64 exec, exec, s[56:57]
.LBB2_138:                              ;   in Loop: Header=BB2_114 Depth=3
	s_or_b64 exec, exec, s[54:55]
.LBB2_139:                              ;   in Loop: Header=BB2_114 Depth=3
	s_or_b64 exec, exec, s[52:53]
	v_cmp_ne_u16_sdwa vcc, sext(v54), v55 src0_sel:BYTE_0 src1_sel:DWORD
	s_and_saveexec_b64 s[52:53], vcc
	s_cbranch_execz .LBB2_147
; %bb.140:                              ;   in Loop: Header=BB2_114 Depth=3
	v_cmp_ne_u16_sdwa vcc, sext(v54), s65 src0_sel:BYTE_0 src1_sel:DWORD
	v_bfrev_b32_e32 v2, 1
	s_and_saveexec_b64 s[54:55], vcc
	s_cbranch_execz .LBB2_146
; %bb.141:                              ;   in Loop: Header=BB2_114 Depth=3
	v_and_b32_e32 v2, 0x7c, v54
	v_and_b32_e32 v23, 3, v54
	v_cmp_ne_u32_e32 vcc, s66, v2
                                        ; implicit-def: $vgpr2
	s_and_saveexec_b64 s[56:57], vcc
	s_xor_b64 s[56:57], exec, s[56:57]
	s_cbranch_execz .LBB2_143
; %bb.142:                              ;   in Loop: Header=BB2_114 Depth=3
	v_ffbh_u32_e32 v24, v23
	v_min_u32_e32 v26, 32, v24
	v_subrev_u32_e32 v24, 29, v26
	v_bfe_u32 v2, v54, 2, 5
	v_lshlrev_b64 v[24:25], v24, v[54:55]
	v_sub_u32_e32 v25, 30, v26
	v_cmp_eq_u32_e32 vcc, 0, v2
	v_and_b32_e32 v24, 3, v24
	v_cndmask_b32_e32 v2, v2, v25, vcc
	v_cndmask_b32_e32 v23, v23, v24, vcc
	v_lshlrev_b32_e32 v24, 24, v54
	v_lshl_add_u32 v2, v2, 23, v47
	v_and_or_b32 v2, v24, s67, v2
	v_lshl_or_b32 v2, v23, 21, v2
                                        ; implicit-def: $vgpr23
.LBB2_143:                              ;   in Loop: Header=BB2_114 Depth=3
	s_andn2_saveexec_b64 s[56:57], s[56:57]
; %bb.144:                              ;   in Loop: Header=BB2_114 Depth=3
	v_cmp_gt_i16_sdwa vcc, sext(v54), v6 src0_sel:BYTE_0 src1_sel:DWORD
	v_cndmask_b32_e32 v2, v7, v10, vcc
	v_cmp_eq_u32_e32 vcc, 0, v23
	v_cndmask_b32_e32 v2, v11, v2, vcc
; %bb.145:                              ;   in Loop: Header=BB2_114 Depth=3
	s_or_b64 exec, exec, s[56:57]
.LBB2_146:                              ;   in Loop: Header=BB2_114 Depth=3
	s_or_b64 exec, exec, s[54:55]
.LBB2_147:                              ;   in Loop: Header=BB2_114 Depth=3
	s_or_b64 exec, exec, s[52:53]
	v_max_f32_e32 v2, v2, v2
	v_max_f32_e32 v1, v1, v1
	;; [unrolled: 1-line block ×3, first 2 shown]
.LBB2_148:                              ;   in Loop: Header=BB2_114 Depth=3
	s_andn2_saveexec_b64 s[50:51], s[50:51]
	s_cbranch_execz .LBB2_166
; %bb.149:                              ;   in Loop: Header=BB2_114 Depth=3
	v_mov_b32_e32 v2, 0
	v_mov_b32_e32 v1, 0
	s_and_saveexec_b64 s[52:53], s[20:21]
	s_cbranch_execz .LBB2_157
; %bb.150:                              ;   in Loop: Header=BB2_114 Depth=3
	v_cmp_ne_u16_sdwa vcc, sext(v16), s65 src0_sel:BYTE_0 src1_sel:DWORD
	v_bfrev_b32_e32 v1, 1
	s_and_saveexec_b64 s[20:21], vcc
	s_cbranch_execz .LBB2_156
; %bb.151:                              ;   in Loop: Header=BB2_114 Depth=3
	v_and_b32_e32 v1, 0x7c, v16
	v_and_b32_e32 v23, 3, v16
	v_cmp_ne_u32_e32 vcc, s66, v1
                                        ; implicit-def: $vgpr1
	s_and_saveexec_b64 s[54:55], vcc
	s_xor_b64 s[54:55], exec, s[54:55]
	s_cbranch_execz .LBB2_153
; %bb.152:                              ;   in Loop: Header=BB2_114 Depth=3
	v_ffbh_u32_e32 v24, v23
	v_min_u32_e32 v26, 32, v24
	v_bfe_u32 v1, v16, 2, 5
	v_subrev_u32_e32 v24, 29, v26
	v_lshlrev_b64 v[24:25], v24, v[16:17]
	v_sub_u32_e32 v17, 30, v26
	v_cmp_eq_u32_e32 vcc, 0, v1
	v_and_b32_e32 v24, 3, v24
	v_cndmask_b32_e32 v1, v1, v17, vcc
	v_cndmask_b32_e32 v17, v23, v24, vcc
	v_lshlrev_b32_e32 v23, 24, v16
	v_lshl_add_u32 v1, v1, 23, v47
	v_and_or_b32 v1, v23, s67, v1
	v_lshl_or_b32 v1, v17, 21, v1
                                        ; implicit-def: $vgpr23
.LBB2_153:                              ;   in Loop: Header=BB2_114 Depth=3
	s_andn2_saveexec_b64 s[54:55], s[54:55]
; %bb.154:                              ;   in Loop: Header=BB2_114 Depth=3
	v_cmp_gt_i16_sdwa vcc, sext(v16), v6 src0_sel:BYTE_0 src1_sel:DWORD
	v_cndmask_b32_e32 v1, v7, v10, vcc
	v_cmp_eq_u32_e32 vcc, 0, v23
	v_cndmask_b32_e32 v1, v11, v1, vcc
; %bb.155:                              ;   in Loop: Header=BB2_114 Depth=3
	s_or_b64 exec, exec, s[54:55]
.LBB2_156:                              ;   in Loop: Header=BB2_114 Depth=3
	s_or_b64 exec, exec, s[20:21]
.LBB2_157:                              ;   in Loop: Header=BB2_114 Depth=3
	s_or_b64 exec, exec, s[52:53]
	v_cmp_ne_u16_sdwa vcc, sext(v54), v55 src0_sel:BYTE_0 src1_sel:DWORD
	s_and_saveexec_b64 s[20:21], vcc
	s_cbranch_execz .LBB2_165
; %bb.158:                              ;   in Loop: Header=BB2_114 Depth=3
	v_cmp_ne_u16_sdwa vcc, sext(v54), s65 src0_sel:BYTE_0 src1_sel:DWORD
	v_bfrev_b32_e32 v2, 1
	s_and_saveexec_b64 s[52:53], vcc
	s_cbranch_execz .LBB2_164
; %bb.159:                              ;   in Loop: Header=BB2_114 Depth=3
	v_and_b32_e32 v2, 0x7c, v54
	v_and_b32_e32 v17, 3, v54
	v_cmp_ne_u32_e32 vcc, s66, v2
                                        ; implicit-def: $vgpr2
	s_and_saveexec_b64 s[54:55], vcc
	s_xor_b64 s[54:55], exec, s[54:55]
	s_cbranch_execz .LBB2_161
; %bb.160:                              ;   in Loop: Header=BB2_114 Depth=3
	v_ffbh_u32_e32 v23, v17
	v_bfe_u32 v2, v54, 2, 5
	v_min_u32_e32 v23, 32, v23
	v_subrev_u32_e32 v24, 29, v23
	v_sub_u32_e32 v23, 30, v23
	v_cmp_eq_u32_e32 vcc, 0, v2
	v_lshlrev_b64 v[24:25], v24, v[54:55]
	v_cndmask_b32_e32 v2, v2, v23, vcc
	v_and_b32_e32 v24, 3, v24
	v_lshlrev_b32_e32 v23, 24, v54
	v_lshl_add_u32 v2, v2, 23, v47
	v_cndmask_b32_e32 v17, v17, v24, vcc
	v_and_or_b32 v2, v23, s67, v2
	v_lshl_or_b32 v2, v17, 21, v2
                                        ; implicit-def: $vgpr17
.LBB2_161:                              ;   in Loop: Header=BB2_114 Depth=3
	s_andn2_saveexec_b64 s[54:55], s[54:55]
; %bb.162:                              ;   in Loop: Header=BB2_114 Depth=3
	v_cmp_gt_i16_sdwa vcc, sext(v54), v6 src0_sel:BYTE_0 src1_sel:DWORD
	v_cndmask_b32_e32 v2, v7, v10, vcc
	v_cmp_eq_u32_e32 vcc, 0, v17
	v_cndmask_b32_e32 v2, v11, v2, vcc
; %bb.163:                              ;   in Loop: Header=BB2_114 Depth=3
	s_or_b64 exec, exec, s[54:55]
.LBB2_164:                              ;   in Loop: Header=BB2_114 Depth=3
	s_or_b64 exec, exec, s[52:53]
.LBB2_165:                              ;   in Loop: Header=BB2_114 Depth=3
	s_or_b64 exec, exec, s[20:21]
	v_max_f32_e32 v2, v2, v2
	v_max_f32_e32 v1, v1, v1
	v_min_f32_e32 v23, v1, v2
.LBB2_166:                              ;   in Loop: Header=BB2_114 Depth=3
	s_or_b64 exec, exec, s[50:51]
	v_and_b32_sdwa v2, v23, s68 dst_sel:DWORD dst_unused:UNUSED_PAD src0_sel:BYTE_3 src1_sel:DWORD
	v_and_b32_e32 v26, 0x7f800000, v23
	v_mov_b32_e32 v27, v55
	v_and_b32_e32 v24, 0x7fffff, v23
	v_mov_b32_e32 v25, v55
	v_or_b32_e32 v1, 0x7b, v2
	v_cmp_ne_u64_e32 vcc, s[40:41], v[26:27]
	s_and_saveexec_b64 s[20:21], vcc
	s_xor_b64 s[50:51], exec, s[20:21]
	s_cbranch_execz .LBB2_176
; %bb.167:                              ;   in Loop: Header=BB2_114 Depth=3
	v_and_b32_e32 v26, 0x7fffffff, v23
	v_mov_b32_e32 v27, v55
	v_cmp_gt_u64_e32 vcc, s[42:43], v[26:27]
	s_and_saveexec_b64 s[52:53], vcc
	s_cbranch_execz .LBB2_175
; %bb.168:                              ;   in Loop: Header=BB2_114 Depth=3
	v_cmp_ne_u32_e32 vcc, 0, v23
	v_mov_b32_e32 v1, 0
	s_and_saveexec_b64 s[54:55], vcc
	s_cbranch_execz .LBB2_174
; %bb.169:                              ;   in Loop: Header=BB2_114 Depth=3
	v_bfe_u32 v1, v23, 23, 8
	v_sub_u32_e32 v23, 0x71, v1
	v_cmp_gt_u32_e32 vcc, s69, v1
	v_add_u32_e32 v17, 0xffffff81, v1
	v_cndmask_b32_e32 v23, 0, v23, vcc
	v_cmp_eq_u32_e32 vcc, 0, v1
	v_cndmask_b32_e32 v1, v17, v30, vcc
	v_cndmask_b32_e32 v17, v23, v48, vcc
	v_or_b32_e32 v26, 0x800000, v24
	v_add_u32_e32 v23, 21, v17
	v_cndmask_b32_e32 v24, v26, v24, vcc
	v_lshlrev_b64 v[26:27], v23, -1
	v_not_b32_e32 v23, v27
	v_not_b32_e32 v26, v26
	v_and_b32_e32 v27, 0, v23
	v_and_b32_e32 v26, v24, v26
	v_add_u32_e32 v23, 20, v17
	v_lshrrev_b64 v[24:25], v17, v[24:25]
	v_lshlrev_b64 v[40:41], v23, 1
	v_lshrrev_b32_e32 v23, 23, v24
	v_add3_u32 v23, v17, v1, v23
	v_bfe_u32 v1, v24, 21, 1
	v_add_u32_e32 v1, -1, v1
	v_cmp_eq_u64_e32 vcc, v[26:27], v[40:41]
	v_cndmask_b32_e32 v1, 0, v1, vcc
	v_add_u32_e32 v1, v1, v24
	v_and_b32_e32 v1, 0x1fffff, v1
	v_add_co_u32_e32 v24, vcc, v1, v24
	v_add_u32_e32 v17, 14, v23
	v_addc_co_u32_e32 v25, vcc, 0, v25, vcc
	v_cmp_ne_u32_e32 vcc, 0, v17
                                        ; implicit-def: $vgpr1
	s_and_saveexec_b64 s[20:21], vcc
	s_xor_b64 s[20:21], exec, s[20:21]
; %bb.170:                              ;   in Loop: Header=BB2_114 Depth=3
	v_add_u32_e32 v1, 15, v23
	v_cmp_lt_u64_e32 vcc, s[44:45], v[24:25]
	v_cndmask_b32_e32 v1, v17, v1, vcc
	v_cndmask_b32_e64 v17, 0, 1, vcc
	v_lshrrev_b64 v[24:25], v17, v[24:25]
; %bb.171:                              ;   in Loop: Header=BB2_114 Depth=3
	s_andn2_saveexec_b64 s[20:21], s[20:21]
; %bb.172:                              ;   in Loop: Header=BB2_114 Depth=3
	v_bfe_u32 v1, v24, 23, 1
; %bb.173:                              ;   in Loop: Header=BB2_114 Depth=3
	s_or_b64 exec, exec, s[20:21]
	v_lshrrev_b64 v[24:25], 21, v[24:25]
	v_cmp_gt_i32_e32 vcc, 32, v1
	v_cndmask_b32_e32 v25, 0, v25, vcc
	v_cndmask_b32_e32 v24, 3, v24, vcc
	v_cmp_eq_u32_e32 vcc, 0, v1
	v_min_i32_e32 v1, 31, v1
	v_cmp_eq_u64_e64 s[20:21], 0, v[24:25]
	v_lshlrev_b32_e32 v1, 2, v1
	v_and_or_b32 v1, v24, 3, v1
	s_and_b64 s[20:21], vcc, s[20:21]
	v_cndmask_b32_e64 v1, v1, 0, s[20:21]
	v_or_b32_e32 v1, v1, v2
.LBB2_174:                              ;   in Loop: Header=BB2_114 Depth=3
	s_or_b64 exec, exec, s[54:55]
.LBB2_175:                              ;   in Loop: Header=BB2_114 Depth=3
	s_or_b64 exec, exec, s[52:53]
                                        ; implicit-def: $vgpr23
                                        ; implicit-def: $vgpr24_vgpr25
.LBB2_176:                              ;   in Loop: Header=BB2_114 Depth=3
	s_andn2_saveexec_b64 s[20:21], s[50:51]
; %bb.177:                              ;   in Loop: Header=BB2_114 Depth=3
	v_or_b32_sdwa v2, v23, s70 dst_sel:DWORD dst_unused:UNUSED_PAD src0_sel:BYTE_3 src1_sel:DWORD
	v_cmp_eq_u64_e32 vcc, 0, v[24:25]
	v_cndmask_b32_e32 v1, v2, v1, vcc
; %bb.178:                              ;   in Loop: Header=BB2_114 Depth=3
	s_or_b64 exec, exec, s[20:21]
	v_lshrrev_b16_e32 v24, 8, v16
	v_lshrrev_b16_e32 v40, 8, v54
	v_cmp_ne_u16_e32 vcc, 0, v24
                                        ; implicit-def: $vgpr17
	s_and_saveexec_b64 s[20:21], s[14:15]
	s_xor_b64 s[50:51], exec, s[20:21]
	s_cbranch_execz .LBB2_196
; %bb.179:                              ;   in Loop: Header=BB2_114 Depth=3
	v_mov_b32_e32 v17, 0
	v_mov_b32_e32 v2, 0
	s_and_saveexec_b64 s[52:53], vcc
	s_cbranch_execz .LBB2_187
; %bb.180:                              ;   in Loop: Header=BB2_114 Depth=3
	v_cmp_ne_u16_e64 s[20:21], s68, v24
	v_bfrev_b32_e32 v2, 1
	s_and_saveexec_b64 s[54:55], s[20:21]
	s_cbranch_execz .LBB2_186
; %bb.181:                              ;   in Loop: Header=BB2_114 Depth=3
	v_and_b32_e32 v2, 0x7c, v24
	v_and_b32_e32 v23, 3, v24
	v_cmp_ne_u32_e64 s[20:21], s66, v2
                                        ; implicit-def: $vgpr2
	s_and_saveexec_b64 s[56:57], s[20:21]
	s_xor_b64 s[56:57], exec, s[56:57]
	s_cbranch_execz .LBB2_183
; %bb.182:                              ;   in Loop: Header=BB2_114 Depth=3
	v_ffbh_u32_e32 v26, v23
	v_min_u32_e32 v26, 32, v26
	v_mov_b32_e32 v25, v55
	v_subrev_u32_e32 v27, 29, v26
	v_bfe_u32 v2, v24, 2, 5
	v_lshlrev_b64 v[24:25], v27, v[24:25]
	v_sub_u32_e32 v25, 30, v26
	v_cmp_eq_u32_e64 s[20:21], 0, v2
	v_and_b32_e32 v24, 3, v24
	v_cndmask_b32_e64 v2, v2, v25, s[20:21]
	v_cndmask_b32_e64 v23, v23, v24, s[20:21]
	v_lshlrev_b32_e32 v24, 16, v16
	v_lshl_add_u32 v2, v2, 23, v47
	v_and_or_b32 v2, v24, s67, v2
	v_lshl_or_b32 v2, v23, 21, v2
                                        ; implicit-def: $vgpr23
.LBB2_183:                              ;   in Loop: Header=BB2_114 Depth=3
	s_andn2_saveexec_b64 s[56:57], s[56:57]
; %bb.184:                              ;   in Loop: Header=BB2_114 Depth=3
	v_cmp_lt_i16_e64 s[20:21], -1, v16
	v_cndmask_b32_e64 v2, v7, v10, s[20:21]
	v_cmp_eq_u32_e64 s[20:21], 0, v23
	v_cndmask_b32_e64 v2, v11, v2, s[20:21]
; %bb.185:                              ;   in Loop: Header=BB2_114 Depth=3
	s_or_b64 exec, exec, s[56:57]
.LBB2_186:                              ;   in Loop: Header=BB2_114 Depth=3
	s_or_b64 exec, exec, s[54:55]
.LBB2_187:                              ;   in Loop: Header=BB2_114 Depth=3
	s_or_b64 exec, exec, s[52:53]
	v_cmp_ne_u16_e64 s[20:21], 0, v40
	s_and_saveexec_b64 s[52:53], s[20:21]
	s_cbranch_execz .LBB2_195
; %bb.188:                              ;   in Loop: Header=BB2_114 Depth=3
	v_cmp_ne_u16_e64 s[20:21], s68, v40
	v_bfrev_b32_e32 v17, 1
	s_and_saveexec_b64 s[54:55], s[20:21]
	s_cbranch_execz .LBB2_194
; %bb.189:                              ;   in Loop: Header=BB2_114 Depth=3
	v_and_b32_e32 v17, 0x7c, v40
	v_and_b32_e32 v23, 3, v40
	v_cmp_ne_u32_e64 s[20:21], s66, v17
                                        ; implicit-def: $vgpr17
	s_and_saveexec_b64 s[56:57], s[20:21]
	s_xor_b64 s[56:57], exec, s[56:57]
	s_cbranch_execz .LBB2_191
; %bb.190:                              ;   in Loop: Header=BB2_114 Depth=3
	v_ffbh_u32_e32 v24, v23
	v_min_u32_e32 v26, 32, v24
	v_mov_b32_e32 v41, v55
	v_subrev_u32_e32 v24, 29, v26
	v_bfe_u32 v17, v40, 2, 5
	v_lshlrev_b64 v[24:25], v24, v[40:41]
	v_sub_u32_e32 v25, 30, v26
	v_cmp_eq_u32_e64 s[20:21], 0, v17
	v_and_b32_e32 v24, 3, v24
	v_cndmask_b32_e64 v17, v17, v25, s[20:21]
	v_cndmask_b32_e64 v23, v23, v24, s[20:21]
	v_lshlrev_b32_e32 v24, 16, v54
	v_lshl_add_u32 v17, v17, 23, v47
	v_and_or_b32 v17, v24, s67, v17
	v_lshl_or_b32 v17, v23, 21, v17
                                        ; implicit-def: $vgpr23
.LBB2_191:                              ;   in Loop: Header=BB2_114 Depth=3
	s_andn2_saveexec_b64 s[56:57], s[56:57]
; %bb.192:                              ;   in Loop: Header=BB2_114 Depth=3
	v_cmp_lt_i16_e64 s[20:21], -1, v54
	v_cndmask_b32_e64 v17, v7, v10, s[20:21]
	v_cmp_eq_u32_e64 s[20:21], 0, v23
	v_cndmask_b32_e64 v17, v11, v17, s[20:21]
; %bb.193:                              ;   in Loop: Header=BB2_114 Depth=3
	s_or_b64 exec, exec, s[56:57]
.LBB2_194:                              ;   in Loop: Header=BB2_114 Depth=3
	s_or_b64 exec, exec, s[54:55]
.LBB2_195:                              ;   in Loop: Header=BB2_114 Depth=3
	s_or_b64 exec, exec, s[52:53]
	v_max_f32_e32 v17, v17, v17
	v_max_f32_e32 v2, v2, v2
	;; [unrolled: 1-line block ×3, first 2 shown]
                                        ; implicit-def: $vgpr40
                                        ; implicit-def: $vgpr24
.LBB2_196:                              ;   in Loop: Header=BB2_114 Depth=3
	s_andn2_saveexec_b64 s[20:21], s[50:51]
	s_cbranch_execz .LBB2_214
; %bb.197:                              ;   in Loop: Header=BB2_114 Depth=3
	v_mov_b32_e32 v17, 0
	v_mov_b32_e32 v2, 0
	s_and_saveexec_b64 s[50:51], vcc
	s_cbranch_execz .LBB2_205
; %bb.198:                              ;   in Loop: Header=BB2_114 Depth=3
	v_cmp_ne_u16_e32 vcc, s68, v24
	v_bfrev_b32_e32 v2, 1
	s_and_saveexec_b64 s[52:53], vcc
	s_cbranch_execz .LBB2_204
; %bb.199:                              ;   in Loop: Header=BB2_114 Depth=3
	v_and_b32_e32 v2, 0x7c, v24
	v_and_b32_e32 v23, 3, v24
	v_cmp_ne_u32_e32 vcc, s66, v2
                                        ; implicit-def: $vgpr2
	s_and_saveexec_b64 s[54:55], vcc
	s_xor_b64 s[54:55], exec, s[54:55]
	s_cbranch_execz .LBB2_201
; %bb.200:                              ;   in Loop: Header=BB2_114 Depth=3
	v_ffbh_u32_e32 v26, v23
	v_min_u32_e32 v26, 32, v26
	v_mov_b32_e32 v25, v55
	v_subrev_u32_e32 v27, 29, v26
	v_bfe_u32 v2, v24, 2, 5
	v_lshlrev_b64 v[24:25], v27, v[24:25]
	v_sub_u32_e32 v25, 30, v26
	v_cmp_eq_u32_e32 vcc, 0, v2
	v_and_b32_e32 v24, 3, v24
	v_cndmask_b32_e32 v2, v2, v25, vcc
	v_cndmask_b32_e32 v23, v23, v24, vcc
	v_lshlrev_b32_e32 v24, 16, v16
	v_lshl_add_u32 v2, v2, 23, v47
	v_and_or_b32 v2, v24, s67, v2
	v_lshl_or_b32 v2, v23, 21, v2
                                        ; implicit-def: $vgpr23
.LBB2_201:                              ;   in Loop: Header=BB2_114 Depth=3
	s_andn2_saveexec_b64 s[54:55], s[54:55]
; %bb.202:                              ;   in Loop: Header=BB2_114 Depth=3
	v_cmp_lt_i16_e32 vcc, -1, v16
	v_cndmask_b32_e32 v2, v7, v10, vcc
	v_cmp_eq_u32_e32 vcc, 0, v23
	v_cndmask_b32_e32 v2, v11, v2, vcc
; %bb.203:                              ;   in Loop: Header=BB2_114 Depth=3
	s_or_b64 exec, exec, s[54:55]
.LBB2_204:                              ;   in Loop: Header=BB2_114 Depth=3
	s_or_b64 exec, exec, s[52:53]
.LBB2_205:                              ;   in Loop: Header=BB2_114 Depth=3
	s_or_b64 exec, exec, s[50:51]
	v_cmp_ne_u16_e32 vcc, 0, v40
	s_and_saveexec_b64 s[50:51], vcc
	s_cbranch_execz .LBB2_213
; %bb.206:                              ;   in Loop: Header=BB2_114 Depth=3
	v_cmp_ne_u16_e32 vcc, s68, v40
	v_bfrev_b32_e32 v17, 1
	s_and_saveexec_b64 s[52:53], vcc
	s_cbranch_execz .LBB2_212
; %bb.207:                              ;   in Loop: Header=BB2_114 Depth=3
	v_and_b32_e32 v17, 0x7c, v40
	v_and_b32_e32 v23, 3, v40
	v_cmp_ne_u32_e32 vcc, s66, v17
                                        ; implicit-def: $vgpr17
	s_and_saveexec_b64 s[54:55], vcc
	s_xor_b64 s[54:55], exec, s[54:55]
	s_cbranch_execz .LBB2_209
; %bb.208:                              ;   in Loop: Header=BB2_114 Depth=3
	v_ffbh_u32_e32 v24, v23
	v_min_u32_e32 v26, 32, v24
	v_mov_b32_e32 v41, v55
	v_subrev_u32_e32 v24, 29, v26
	v_bfe_u32 v17, v40, 2, 5
	v_lshlrev_b64 v[24:25], v24, v[40:41]
	v_sub_u32_e32 v25, 30, v26
	v_cmp_eq_u32_e32 vcc, 0, v17
	v_and_b32_e32 v24, 3, v24
	v_cndmask_b32_e32 v17, v17, v25, vcc
	v_cndmask_b32_e32 v23, v23, v24, vcc
	v_lshlrev_b32_e32 v24, 16, v54
	v_lshl_add_u32 v17, v17, 23, v47
	v_and_or_b32 v17, v24, s67, v17
	v_lshl_or_b32 v17, v23, 21, v17
                                        ; implicit-def: $vgpr23
.LBB2_209:                              ;   in Loop: Header=BB2_114 Depth=3
	s_andn2_saveexec_b64 s[54:55], s[54:55]
; %bb.210:                              ;   in Loop: Header=BB2_114 Depth=3
	v_cmp_lt_i16_e32 vcc, -1, v54
	v_cndmask_b32_e32 v17, v7, v10, vcc
	v_cmp_eq_u32_e32 vcc, 0, v23
	v_cndmask_b32_e32 v17, v11, v17, vcc
; %bb.211:                              ;   in Loop: Header=BB2_114 Depth=3
	s_or_b64 exec, exec, s[54:55]
.LBB2_212:                              ;   in Loop: Header=BB2_114 Depth=3
	s_or_b64 exec, exec, s[52:53]
.LBB2_213:                              ;   in Loop: Header=BB2_114 Depth=3
	s_or_b64 exec, exec, s[50:51]
	v_max_f32_e32 v17, v17, v17
	v_max_f32_e32 v2, v2, v2
	v_min_f32_e32 v17, v2, v17
.LBB2_214:                              ;   in Loop: Header=BB2_114 Depth=3
	s_or_b64 exec, exec, s[20:21]
	v_and_b32_sdwa v2, v17, s68 dst_sel:DWORD dst_unused:UNUSED_PAD src0_sel:BYTE_3 src1_sel:DWORD
	v_and_b32_e32 v40, 0x7f800000, v17
	v_mov_b32_e32 v41, v55
	v_and_b32_e32 v24, 0x7fffff, v17
	v_mov_b32_e32 v25, v55
	v_or_b32_e32 v26, 0x7b, v2
	v_cmp_ne_u64_e32 vcc, s[40:41], v[40:41]
	s_and_saveexec_b64 s[20:21], vcc
	s_xor_b64 s[50:51], exec, s[20:21]
	s_cbranch_execz .LBB2_224
; %bb.215:                              ;   in Loop: Header=BB2_114 Depth=3
	v_and_b32_e32 v40, 0x7fffffff, v17
	v_mov_b32_e32 v41, v55
	v_cmp_gt_u64_e32 vcc, s[42:43], v[40:41]
	s_and_saveexec_b64 s[52:53], vcc
	s_cbranch_execz .LBB2_223
; %bb.216:                              ;   in Loop: Header=BB2_114 Depth=3
	v_cmp_ne_u32_e32 vcc, 0, v17
	v_mov_b32_e32 v26, 0
	s_and_saveexec_b64 s[54:55], vcc
	s_cbranch_execz .LBB2_222
; %bb.217:                              ;   in Loop: Header=BB2_114 Depth=3
	v_bfe_u32 v17, v17, 23, 8
	v_sub_u32_e32 v26, 0x71, v17
	v_cmp_gt_u32_e32 vcc, s69, v17
	v_add_u32_e32 v23, 0xffffff81, v17
	v_cndmask_b32_e32 v26, 0, v26, vcc
	v_cmp_eq_u32_e32 vcc, 0, v17
	v_cndmask_b32_e32 v17, v23, v30, vcc
	v_cndmask_b32_e32 v23, v26, v48, vcc
	v_or_b32_e32 v27, 0x800000, v24
	v_add_u32_e32 v26, 21, v23
	v_cndmask_b32_e32 v24, v27, v24, vcc
	v_lshlrev_b64 v[26:27], v26, -1
	v_not_b32_e32 v26, v26
	v_and_b32_e32 v40, v24, v26
	v_add_u32_e32 v26, 20, v23
	v_lshrrev_b64 v[24:25], v23, v[24:25]
	v_not_b32_e32 v27, v27
	v_lshlrev_b64 v[50:51], v26, 1
	v_lshrrev_b32_e32 v26, 23, v24
	v_and_b32_e32 v41, 0, v27
	v_add3_u32 v26, v23, v17, v26
	v_bfe_u32 v17, v24, 21, 1
	v_add_u32_e32 v17, -1, v17
	v_cmp_eq_u64_e32 vcc, v[40:41], v[50:51]
	v_cndmask_b32_e32 v17, 0, v17, vcc
	v_add_u32_e32 v17, v17, v24
	v_and_b32_e32 v17, 0x1fffff, v17
	v_add_co_u32_e32 v24, vcc, v17, v24
	v_add_u32_e32 v23, 14, v26
	v_addc_co_u32_e32 v25, vcc, 0, v25, vcc
	v_cmp_ne_u32_e32 vcc, 0, v23
                                        ; implicit-def: $vgpr17
	s_and_saveexec_b64 s[20:21], vcc
	s_xor_b64 s[20:21], exec, s[20:21]
; %bb.218:                              ;   in Loop: Header=BB2_114 Depth=3
	v_add_u32_e32 v17, 15, v26
	v_cmp_lt_u64_e32 vcc, s[44:45], v[24:25]
	v_cndmask_b32_e32 v17, v23, v17, vcc
	v_cndmask_b32_e64 v23, 0, 1, vcc
	v_lshrrev_b64 v[24:25], v23, v[24:25]
; %bb.219:                              ;   in Loop: Header=BB2_114 Depth=3
	s_andn2_saveexec_b64 s[20:21], s[20:21]
; %bb.220:                              ;   in Loop: Header=BB2_114 Depth=3
	v_bfe_u32 v17, v24, 23, 1
; %bb.221:                              ;   in Loop: Header=BB2_114 Depth=3
	s_or_b64 exec, exec, s[20:21]
	v_lshrrev_b64 v[24:25], 21, v[24:25]
	v_cmp_gt_i32_e32 vcc, 32, v17
	v_cndmask_b32_e32 v25, 0, v25, vcc
	v_cndmask_b32_e32 v24, 3, v24, vcc
	v_cmp_eq_u32_e32 vcc, 0, v17
	v_min_i32_e32 v17, 31, v17
	v_cmp_eq_u64_e64 s[20:21], 0, v[24:25]
	v_lshlrev_b32_e32 v17, 2, v17
	v_and_or_b32 v17, v24, 3, v17
	s_and_b64 s[20:21], vcc, s[20:21]
	v_cndmask_b32_e64 v17, v17, 0, s[20:21]
	v_or_b32_e32 v26, v17, v2
.LBB2_222:                              ;   in Loop: Header=BB2_114 Depth=3
	s_or_b64 exec, exec, s[54:55]
.LBB2_223:                              ;   in Loop: Header=BB2_114 Depth=3
	s_or_b64 exec, exec, s[52:53]
                                        ; implicit-def: $vgpr17
                                        ; implicit-def: $vgpr24_vgpr25
.LBB2_224:                              ;   in Loop: Header=BB2_114 Depth=3
	s_andn2_saveexec_b64 s[20:21], s[50:51]
; %bb.225:                              ;   in Loop: Header=BB2_114 Depth=3
	v_or_b32_sdwa v2, v17, s70 dst_sel:DWORD dst_unused:UNUSED_PAD src0_sel:BYTE_3 src1_sel:DWORD
	v_cmp_eq_u64_e32 vcc, 0, v[24:25]
	v_cndmask_b32_e32 v26, v2, v26, vcc
; %bb.226:                              ;   in Loop: Header=BB2_114 Depth=3
	s_or_b64 exec, exec, s[20:21]
	v_lshrrev_b32_e32 v40, 16, v16
	v_lshrrev_b32_e32 v2, 16, v54
	v_cmp_ne_u16_sdwa s[20:21], v40, v55 src0_sel:BYTE_0 src1_sel:DWORD
                                        ; implicit-def: $vgpr17
	s_and_saveexec_b64 vcc, s[14:15]
	s_xor_b64 s[50:51], exec, vcc
	s_cbranch_execz .LBB2_244
; %bb.227:                              ;   in Loop: Header=BB2_114 Depth=3
	v_mov_b32_e32 v23, 0
	v_mov_b32_e32 v17, 0
	s_and_saveexec_b64 s[52:53], s[20:21]
	s_cbranch_execz .LBB2_235
; %bb.228:                              ;   in Loop: Header=BB2_114 Depth=3
	v_cmp_ne_u16_sdwa vcc, v40, s68 src0_sel:BYTE_0 src1_sel:DWORD
	v_bfrev_b32_e32 v17, 1
	s_and_saveexec_b64 s[54:55], vcc
	s_cbranch_execz .LBB2_234
; %bb.229:                              ;   in Loop: Header=BB2_114 Depth=3
	v_and_b32_e32 v17, 0x7c0000, v16
	v_bfe_u32 v24, v16, 16, 2
	v_cmp_ne_u32_e32 vcc, s71, v17
                                        ; implicit-def: $vgpr17
	s_and_saveexec_b64 s[56:57], vcc
	s_xor_b64 s[56:57], exec, s[56:57]
	s_cbranch_execz .LBB2_231
; %bb.230:                              ;   in Loop: Header=BB2_114 Depth=3
	v_ffbh_u32_e32 v25, v24
	v_bfe_u32 v17, v16, 18, 5
	v_min_u32_e32 v25, 32, v25
	v_subrev_u32_e32 v27, 29, v25
	v_sub_u32_e32 v25, 30, v25
	v_cmp_eq_u32_e32 vcc, 0, v17
	v_lshlrev_b64 v[50:51], v27, v[40:41]
	v_cndmask_b32_e32 v17, v17, v25, vcc
	v_and_b32_e32 v27, 3, v50
	v_lshlrev_b32_e32 v25, 24, v40
	v_lshl_add_u32 v17, v17, 23, v47
	v_cndmask_b32_e32 v24, v24, v27, vcc
	v_and_or_b32 v17, v25, s67, v17
	v_lshl_or_b32 v17, v24, 21, v17
                                        ; implicit-def: $vgpr24
                                        ; implicit-def: $vgpr40
.LBB2_231:                              ;   in Loop: Header=BB2_114 Depth=3
	s_andn2_saveexec_b64 s[56:57], s[56:57]
; %bb.232:                              ;   in Loop: Header=BB2_114 Depth=3
	v_cmp_gt_i16_sdwa vcc, sext(v40), v6 src0_sel:BYTE_0 src1_sel:DWORD
	v_cndmask_b32_e32 v17, v7, v10, vcc
	v_cmp_eq_u32_e32 vcc, 0, v24
	v_cndmask_b32_e32 v17, v11, v17, vcc
; %bb.233:                              ;   in Loop: Header=BB2_114 Depth=3
	s_or_b64 exec, exec, s[56:57]
.LBB2_234:                              ;   in Loop: Header=BB2_114 Depth=3
	s_or_b64 exec, exec, s[54:55]
.LBB2_235:                              ;   in Loop: Header=BB2_114 Depth=3
	s_or_b64 exec, exec, s[52:53]
	v_and_b32_sdwa v25, v54, s64 dst_sel:DWORD dst_unused:UNUSED_PAD src0_sel:WORD_1 src1_sel:DWORD
	v_lshrrev_b32_e32 v24, 16, v54
	v_cmp_ne_u16_e32 vcc, 0, v25
	s_and_saveexec_b64 s[52:53], vcc
	s_cbranch_execz .LBB2_243
; %bb.236:                              ;   in Loop: Header=BB2_114 Depth=3
	v_cmp_ne_u16_e32 vcc, s68, v25
	v_bfrev_b32_e32 v23, 1
	s_and_saveexec_b64 s[54:55], vcc
	s_cbranch_execz .LBB2_242
; %bb.237:                              ;   in Loop: Header=BB2_114 Depth=3
	v_and_b32_e32 v23, 0x7c0000, v54
	v_bfe_u32 v25, v54, 16, 2
	v_cmp_ne_u32_e32 vcc, s71, v23
                                        ; implicit-def: $vgpr23
	s_and_saveexec_b64 s[56:57], vcc
	s_xor_b64 s[56:57], exec, s[56:57]
	s_cbranch_execz .LBB2_239
; %bb.238:                              ;   in Loop: Header=BB2_114 Depth=3
	v_ffbh_u32_e32 v24, v25
	v_bfe_u32 v23, v54, 18, 5
	v_min_u32_e32 v24, 32, v24
	v_subrev_u32_e32 v27, 29, v24
	v_sub_u32_e32 v24, 30, v24
	v_cmp_eq_u32_e32 vcc, 0, v23
	v_lshlrev_b64 v[50:51], v27, v[2:3]
	v_cndmask_b32_e32 v23, v23, v24, vcc
	v_and_b32_e32 v27, 3, v50
	v_lshlrev_b32_e32 v2, 24, v2
	v_lshl_add_u32 v23, v23, 23, v47
	v_cndmask_b32_e32 v24, v25, v27, vcc
	v_and_or_b32 v2, v2, s67, v23
	v_lshl_or_b32 v23, v24, 21, v2
                                        ; implicit-def: $vgpr25
                                        ; implicit-def: $vgpr24
.LBB2_239:                              ;   in Loop: Header=BB2_114 Depth=3
	s_andn2_saveexec_b64 s[56:57], s[56:57]
; %bb.240:                              ;   in Loop: Header=BB2_114 Depth=3
	v_cmp_gt_i16_sdwa vcc, sext(v24), v6 src0_sel:BYTE_0 src1_sel:DWORD
	v_cndmask_b32_e32 v2, v7, v10, vcc
	v_cmp_eq_u32_e32 vcc, 0, v25
	v_cndmask_b32_e32 v23, v11, v2, vcc
; %bb.241:                              ;   in Loop: Header=BB2_114 Depth=3
	s_or_b64 exec, exec, s[56:57]
.LBB2_242:                              ;   in Loop: Header=BB2_114 Depth=3
	s_or_b64 exec, exec, s[54:55]
.LBB2_243:                              ;   in Loop: Header=BB2_114 Depth=3
	s_or_b64 exec, exec, s[52:53]
	v_max_f32_e32 v2, v23, v23
	v_max_f32_e32 v17, v17, v17
	;; [unrolled: 1-line block ×3, first 2 shown]
                                        ; implicit-def: $vgpr40
                                        ; implicit-def: $vgpr2
.LBB2_244:                              ;   in Loop: Header=BB2_114 Depth=3
	s_andn2_saveexec_b64 s[50:51], s[50:51]
	s_cbranch_execz .LBB2_262
; %bb.245:                              ;   in Loop: Header=BB2_114 Depth=3
	v_mov_b32_e32 v23, 0
	v_mov_b32_e32 v17, 0
	s_and_saveexec_b64 s[52:53], s[20:21]
	s_cbranch_execz .LBB2_253
; %bb.246:                              ;   in Loop: Header=BB2_114 Depth=3
	v_cmp_ne_u16_sdwa vcc, v40, s68 src0_sel:BYTE_0 src1_sel:DWORD
	v_bfrev_b32_e32 v17, 1
	s_and_saveexec_b64 s[20:21], vcc
	s_cbranch_execz .LBB2_252
; %bb.247:                              ;   in Loop: Header=BB2_114 Depth=3
	v_and_b32_e32 v17, 0x7c0000, v16
	v_bfe_u32 v24, v16, 16, 2
	v_cmp_ne_u32_e32 vcc, s71, v17
                                        ; implicit-def: $vgpr17
	s_and_saveexec_b64 s[54:55], vcc
	s_xor_b64 s[54:55], exec, s[54:55]
	s_cbranch_execz .LBB2_249
; %bb.248:                              ;   in Loop: Header=BB2_114 Depth=3
	v_ffbh_u32_e32 v25, v24
	v_bfe_u32 v17, v16, 18, 5
	v_min_u32_e32 v25, 32, v25
	v_subrev_u32_e32 v27, 29, v25
	v_sub_u32_e32 v25, 30, v25
	v_cmp_eq_u32_e32 vcc, 0, v17
	v_lshlrev_b64 v[50:51], v27, v[40:41]
	v_cndmask_b32_e32 v17, v17, v25, vcc
	v_and_b32_e32 v27, 3, v50
	v_lshlrev_b32_e32 v25, 24, v40
	v_lshl_add_u32 v17, v17, 23, v47
	v_cndmask_b32_e32 v24, v24, v27, vcc
	v_and_or_b32 v17, v25, s67, v17
	v_lshl_or_b32 v17, v24, 21, v17
                                        ; implicit-def: $vgpr24
                                        ; implicit-def: $vgpr40
.LBB2_249:                              ;   in Loop: Header=BB2_114 Depth=3
	s_andn2_saveexec_b64 s[54:55], s[54:55]
; %bb.250:                              ;   in Loop: Header=BB2_114 Depth=3
	v_cmp_gt_i16_sdwa vcc, sext(v40), v6 src0_sel:BYTE_0 src1_sel:DWORD
	v_cndmask_b32_e32 v17, v7, v10, vcc
	v_cmp_eq_u32_e32 vcc, 0, v24
	v_cndmask_b32_e32 v17, v11, v17, vcc
; %bb.251:                              ;   in Loop: Header=BB2_114 Depth=3
	s_or_b64 exec, exec, s[54:55]
.LBB2_252:                              ;   in Loop: Header=BB2_114 Depth=3
	s_or_b64 exec, exec, s[20:21]
.LBB2_253:                              ;   in Loop: Header=BB2_114 Depth=3
	s_or_b64 exec, exec, s[52:53]
	v_and_b32_sdwa v25, v54, s64 dst_sel:DWORD dst_unused:UNUSED_PAD src0_sel:WORD_1 src1_sel:DWORD
	v_lshrrev_b32_e32 v24, 16, v54
	v_cmp_ne_u16_e32 vcc, 0, v25
	s_and_saveexec_b64 s[20:21], vcc
	s_cbranch_execz .LBB2_261
; %bb.254:                              ;   in Loop: Header=BB2_114 Depth=3
	v_cmp_ne_u16_e32 vcc, s68, v25
	v_bfrev_b32_e32 v23, 1
	s_and_saveexec_b64 s[52:53], vcc
	s_cbranch_execz .LBB2_260
; %bb.255:                              ;   in Loop: Header=BB2_114 Depth=3
	v_and_b32_e32 v23, 0x7c0000, v54
	v_bfe_u32 v25, v54, 16, 2
	v_cmp_ne_u32_e32 vcc, s71, v23
                                        ; implicit-def: $vgpr23
	s_and_saveexec_b64 s[54:55], vcc
	s_xor_b64 s[54:55], exec, s[54:55]
	s_cbranch_execz .LBB2_257
; %bb.256:                              ;   in Loop: Header=BB2_114 Depth=3
	v_ffbh_u32_e32 v24, v25
	v_bfe_u32 v23, v54, 18, 5
	v_min_u32_e32 v24, 32, v24
	v_subrev_u32_e32 v27, 29, v24
	v_sub_u32_e32 v24, 30, v24
	v_cmp_eq_u32_e32 vcc, 0, v23
	v_lshlrev_b64 v[50:51], v27, v[2:3]
	v_cndmask_b32_e32 v23, v23, v24, vcc
	v_and_b32_e32 v27, 3, v50
	v_lshlrev_b32_e32 v2, 24, v2
	v_lshl_add_u32 v23, v23, 23, v47
	v_cndmask_b32_e32 v24, v25, v27, vcc
	v_and_or_b32 v2, v2, s67, v23
	v_lshl_or_b32 v23, v24, 21, v2
                                        ; implicit-def: $vgpr25
                                        ; implicit-def: $vgpr24
.LBB2_257:                              ;   in Loop: Header=BB2_114 Depth=3
	s_andn2_saveexec_b64 s[54:55], s[54:55]
; %bb.258:                              ;   in Loop: Header=BB2_114 Depth=3
	v_cmp_gt_i16_sdwa vcc, sext(v24), v6 src0_sel:BYTE_0 src1_sel:DWORD
	v_cndmask_b32_e32 v2, v7, v10, vcc
	v_cmp_eq_u32_e32 vcc, 0, v25
	v_cndmask_b32_e32 v23, v11, v2, vcc
; %bb.259:                              ;   in Loop: Header=BB2_114 Depth=3
	s_or_b64 exec, exec, s[54:55]
.LBB2_260:                              ;   in Loop: Header=BB2_114 Depth=3
	s_or_b64 exec, exec, s[52:53]
.LBB2_261:                              ;   in Loop: Header=BB2_114 Depth=3
	s_or_b64 exec, exec, s[20:21]
	v_max_f32_e32 v2, v23, v23
	v_max_f32_e32 v17, v17, v17
	v_min_f32_e32 v17, v17, v2
.LBB2_262:                              ;   in Loop: Header=BB2_114 Depth=3
	s_or_b64 exec, exec, s[50:51]
	v_and_b32_sdwa v2, v17, s68 dst_sel:DWORD dst_unused:UNUSED_PAD src0_sel:BYTE_3 src1_sel:DWORD
	v_and_b32_e32 v50, 0x7f800000, v17
	v_mov_b32_e32 v51, v55
	v_and_b32_e32 v24, 0x7fffff, v17
	v_mov_b32_e32 v25, v55
	v_or_b32_e32 v27, 0x7b, v2
	v_cmp_ne_u64_e32 vcc, s[40:41], v[50:51]
	s_and_saveexec_b64 s[20:21], vcc
	s_xor_b64 s[50:51], exec, s[20:21]
	s_cbranch_execz .LBB2_272
; %bb.263:                              ;   in Loop: Header=BB2_114 Depth=3
	v_and_b32_e32 v50, 0x7fffffff, v17
	v_mov_b32_e32 v51, v55
	v_cmp_gt_u64_e32 vcc, s[42:43], v[50:51]
	s_and_saveexec_b64 s[52:53], vcc
	s_cbranch_execz .LBB2_271
; %bb.264:                              ;   in Loop: Header=BB2_114 Depth=3
	v_cmp_ne_u32_e32 vcc, 0, v17
	v_mov_b32_e32 v27, 0
	s_and_saveexec_b64 s[54:55], vcc
	s_cbranch_execz .LBB2_270
; %bb.265:                              ;   in Loop: Header=BB2_114 Depth=3
	v_bfe_u32 v17, v17, 23, 8
	v_sub_u32_e32 v27, 0x71, v17
	v_cmp_gt_u32_e32 vcc, s69, v17
	v_add_u32_e32 v23, 0xffffff81, v17
	v_cndmask_b32_e32 v27, 0, v27, vcc
	v_cmp_eq_u32_e32 vcc, 0, v17
	v_cndmask_b32_e32 v17, v23, v30, vcc
	v_cndmask_b32_e32 v23, v27, v48, vcc
	v_add_u32_e32 v27, 21, v23
	v_or_b32_e32 v37, 0x800000, v24
	v_lshlrev_b64 v[50:51], v27, -1
	v_cndmask_b32_e32 v24, v37, v24, vcc
	v_not_b32_e32 v27, v51
	v_not_b32_e32 v37, v50
	v_and_b32_e32 v51, 0, v27
	v_and_b32_e32 v50, v24, v37
	v_add_u32_e32 v27, 20, v23
	v_lshrrev_b64 v[24:25], v23, v[24:25]
	v_lshlrev_b64 v[40:41], v27, 1
	v_lshrrev_b32_e32 v27, 23, v24
	v_add3_u32 v27, v23, v17, v27
	v_bfe_u32 v17, v24, 21, 1
	v_add_u32_e32 v17, -1, v17
	v_cmp_eq_u64_e32 vcc, v[50:51], v[40:41]
	v_cndmask_b32_e32 v17, 0, v17, vcc
	v_add_u32_e32 v17, v17, v24
	v_and_b32_e32 v17, 0x1fffff, v17
	v_add_co_u32_e32 v24, vcc, v17, v24
	v_add_u32_e32 v23, 14, v27
	v_addc_co_u32_e32 v25, vcc, 0, v25, vcc
	v_cmp_ne_u32_e32 vcc, 0, v23
                                        ; implicit-def: $vgpr17
	s_and_saveexec_b64 s[20:21], vcc
	s_xor_b64 s[20:21], exec, s[20:21]
; %bb.266:                              ;   in Loop: Header=BB2_114 Depth=3
	v_add_u32_e32 v17, 15, v27
	v_cmp_lt_u64_e32 vcc, s[44:45], v[24:25]
	v_cndmask_b32_e32 v17, v23, v17, vcc
	v_cndmask_b32_e64 v23, 0, 1, vcc
	v_lshrrev_b64 v[24:25], v23, v[24:25]
; %bb.267:                              ;   in Loop: Header=BB2_114 Depth=3
	s_andn2_saveexec_b64 s[20:21], s[20:21]
; %bb.268:                              ;   in Loop: Header=BB2_114 Depth=3
	v_bfe_u32 v17, v24, 23, 1
; %bb.269:                              ;   in Loop: Header=BB2_114 Depth=3
	s_or_b64 exec, exec, s[20:21]
	v_lshrrev_b64 v[24:25], 21, v[24:25]
	v_cmp_gt_i32_e32 vcc, 32, v17
	v_cndmask_b32_e32 v25, 0, v25, vcc
	v_cndmask_b32_e32 v24, 3, v24, vcc
	v_cmp_eq_u32_e32 vcc, 0, v17
	v_min_i32_e32 v17, 31, v17
	v_cmp_eq_u64_e64 s[20:21], 0, v[24:25]
	v_lshlrev_b32_e32 v17, 2, v17
	v_and_or_b32 v17, v24, 3, v17
	s_and_b64 s[20:21], vcc, s[20:21]
	v_cndmask_b32_e64 v17, v17, 0, s[20:21]
	v_or_b32_e32 v27, v17, v2
.LBB2_270:                              ;   in Loop: Header=BB2_114 Depth=3
	s_or_b64 exec, exec, s[54:55]
.LBB2_271:                              ;   in Loop: Header=BB2_114 Depth=3
	s_or_b64 exec, exec, s[52:53]
                                        ; implicit-def: $vgpr17
                                        ; implicit-def: $vgpr24_vgpr25
.LBB2_272:                              ;   in Loop: Header=BB2_114 Depth=3
	s_andn2_saveexec_b64 s[20:21], s[50:51]
; %bb.273:                              ;   in Loop: Header=BB2_114 Depth=3
	v_or_b32_sdwa v2, v17, s70 dst_sel:DWORD dst_unused:UNUSED_PAD src0_sel:BYTE_3 src1_sel:DWORD
	v_cmp_eq_u64_e32 vcc, 0, v[24:25]
	v_cndmask_b32_e32 v27, v2, v27, vcc
; %bb.274:                              ;   in Loop: Header=BB2_114 Depth=3
	s_or_b64 exec, exec, s[20:21]
	v_lshrrev_b32_e32 v24, 24, v16
	v_lshrrev_b32_e32 v2, 24, v54
	v_cmp_lt_u32_e32 vcc, s39, v16
                                        ; implicit-def: $vgpr17
	s_and_saveexec_b64 s[20:21], s[14:15]
	s_xor_b64 s[50:51], exec, s[20:21]
	s_cbranch_execz .LBB2_292
; %bb.275:                              ;   in Loop: Header=BB2_114 Depth=3
	v_mov_b32_e32 v23, 0
	v_mov_b32_e32 v17, 0
	s_and_saveexec_b64 s[52:53], vcc
	s_cbranch_execz .LBB2_283
; %bb.276:                              ;   in Loop: Header=BB2_114 Depth=3
	v_cmp_ne_u32_e64 s[20:21], s68, v24
	v_bfrev_b32_e32 v17, 1
	s_and_saveexec_b64 s[54:55], s[20:21]
	s_cbranch_execz .LBB2_282
; %bb.277:                              ;   in Loop: Header=BB2_114 Depth=3
	v_and_b32_e32 v17, 0x7c000000, v16
	v_bfe_u32 v25, v16, 24, 2
	v_cmp_ne_u32_e64 s[20:21], s72, v17
                                        ; implicit-def: $vgpr17
	s_and_saveexec_b64 s[56:57], s[20:21]
	s_xor_b64 s[56:57], exec, s[56:57]
	s_cbranch_execz .LBB2_279
; %bb.278:                              ;   in Loop: Header=BB2_114 Depth=3
	v_ffbh_u32_e32 v37, v25
	v_min_u32_e32 v37, 32, v37
	v_bfe_u32 v17, v16, 26, 5
	v_subrev_u32_e32 v50, 29, v37
	v_lshlrev_b64 v[50:51], v50, v[24:25]
	v_sub_u32_e32 v24, 30, v37
	v_cmp_eq_u32_e64 s[20:21], 0, v17
	v_cndmask_b32_e64 v17, v17, v24, s[20:21]
	v_and_b32_e32 v37, 3, v50
	v_lshl_add_u32 v17, v17, 23, v47
	v_cndmask_b32_e64 v24, v25, v37, s[20:21]
	v_and_or_b32 v16, v16, s67, v17
	v_lshl_or_b32 v17, v24, 21, v16
                                        ; implicit-def: $vgpr25
.LBB2_279:                              ;   in Loop: Header=BB2_114 Depth=3
	s_andn2_saveexec_b64 s[56:57], s[56:57]
; %bb.280:                              ;   in Loop: Header=BB2_114 Depth=3
	v_cmp_lt_i32_e64 s[20:21], -1, v16
	v_cndmask_b32_e64 v16, v7, v10, s[20:21]
	v_cmp_eq_u32_e64 s[20:21], 0, v25
	v_cndmask_b32_e64 v17, v11, v16, s[20:21]
; %bb.281:                              ;   in Loop: Header=BB2_114 Depth=3
	s_or_b64 exec, exec, s[56:57]
.LBB2_282:                              ;   in Loop: Header=BB2_114 Depth=3
	s_or_b64 exec, exec, s[54:55]
.LBB2_283:                              ;   in Loop: Header=BB2_114 Depth=3
	s_or_b64 exec, exec, s[52:53]
	v_cmp_lt_u32_e64 s[20:21], s39, v54
	s_and_saveexec_b64 s[52:53], s[20:21]
	s_cbranch_execz .LBB2_291
; %bb.284:                              ;   in Loop: Header=BB2_114 Depth=3
	v_cmp_ne_u32_e64 s[20:21], s68, v2
	v_bfrev_b32_e32 v23, 1
	s_and_saveexec_b64 s[54:55], s[20:21]
	s_cbranch_execz .LBB2_290
; %bb.285:                              ;   in Loop: Header=BB2_114 Depth=3
	v_and_b32_e32 v23, 0x7c000000, v54
	v_bfe_u32 v16, v54, 24, 2
	v_cmp_ne_u32_e64 s[20:21], s72, v23
                                        ; implicit-def: $vgpr23
	s_and_saveexec_b64 s[56:57], s[20:21]
	s_xor_b64 s[56:57], exec, s[56:57]
	s_cbranch_execz .LBB2_287
; %bb.286:                              ;   in Loop: Header=BB2_114 Depth=3
	v_ffbh_u32_e32 v24, v16
	v_min_u32_e32 v37, 32, v24
	v_bfe_u32 v23, v54, 26, 5
	v_subrev_u32_e32 v24, 29, v37
	v_lshlrev_b64 v[24:25], v24, v[2:3]
	v_sub_u32_e32 v2, 30, v37
	v_cmp_eq_u32_e64 s[20:21], 0, v23
	v_cndmask_b32_e64 v2, v23, v2, s[20:21]
	v_and_b32_e32 v24, 3, v24
	v_lshl_add_u32 v2, v2, 23, v47
	v_cndmask_b32_e64 v16, v16, v24, s[20:21]
	v_and_or_b32 v2, v54, s67, v2
	v_lshl_or_b32 v23, v16, 21, v2
                                        ; implicit-def: $vgpr16
.LBB2_287:                              ;   in Loop: Header=BB2_114 Depth=3
	s_andn2_saveexec_b64 s[56:57], s[56:57]
; %bb.288:                              ;   in Loop: Header=BB2_114 Depth=3
	v_cmp_lt_i32_e64 s[20:21], -1, v54
	v_cndmask_b32_e64 v2, v7, v10, s[20:21]
	v_cmp_eq_u32_e64 s[20:21], 0, v16
	v_cndmask_b32_e64 v23, v11, v2, s[20:21]
; %bb.289:                              ;   in Loop: Header=BB2_114 Depth=3
	s_or_b64 exec, exec, s[56:57]
.LBB2_290:                              ;   in Loop: Header=BB2_114 Depth=3
	s_or_b64 exec, exec, s[54:55]
.LBB2_291:                              ;   in Loop: Header=BB2_114 Depth=3
	s_or_b64 exec, exec, s[52:53]
	v_max_f32_e32 v2, v23, v23
	v_max_f32_e32 v16, v17, v17
	;; [unrolled: 1-line block ×3, first 2 shown]
                                        ; implicit-def: $vgpr2
                                        ; implicit-def: $vgpr24
.LBB2_292:                              ;   in Loop: Header=BB2_114 Depth=3
	s_andn2_saveexec_b64 s[20:21], s[50:51]
	s_cbranch_execz .LBB2_310
; %bb.293:                              ;   in Loop: Header=BB2_114 Depth=3
	v_mov_b32_e32 v23, 0
	v_mov_b32_e32 v17, 0
	s_and_saveexec_b64 s[50:51], vcc
	s_cbranch_execz .LBB2_301
; %bb.294:                              ;   in Loop: Header=BB2_114 Depth=3
	v_cmp_ne_u32_e32 vcc, s68, v24
	v_bfrev_b32_e32 v17, 1
	s_and_saveexec_b64 s[52:53], vcc
	s_cbranch_execz .LBB2_300
; %bb.295:                              ;   in Loop: Header=BB2_114 Depth=3
	v_and_b32_e32 v17, 0x7c000000, v16
	v_bfe_u32 v25, v16, 24, 2
	v_cmp_ne_u32_e32 vcc, s72, v17
                                        ; implicit-def: $vgpr17
	s_and_saveexec_b64 s[54:55], vcc
	s_xor_b64 s[54:55], exec, s[54:55]
	s_cbranch_execz .LBB2_297
; %bb.296:                              ;   in Loop: Header=BB2_114 Depth=3
	v_ffbh_u32_e32 v37, v25
	v_min_u32_e32 v37, 32, v37
	v_bfe_u32 v17, v16, 26, 5
	v_subrev_u32_e32 v50, 29, v37
	v_lshlrev_b64 v[50:51], v50, v[24:25]
	v_sub_u32_e32 v24, 30, v37
	v_cmp_eq_u32_e32 vcc, 0, v17
	v_cndmask_b32_e32 v17, v17, v24, vcc
	v_and_b32_e32 v37, 3, v50
	v_lshl_add_u32 v17, v17, 23, v47
	v_cndmask_b32_e32 v24, v25, v37, vcc
	v_and_or_b32 v16, v16, s67, v17
	v_lshl_or_b32 v17, v24, 21, v16
                                        ; implicit-def: $vgpr25
.LBB2_297:                              ;   in Loop: Header=BB2_114 Depth=3
	s_andn2_saveexec_b64 s[54:55], s[54:55]
; %bb.298:                              ;   in Loop: Header=BB2_114 Depth=3
	v_cmp_lt_i32_e32 vcc, -1, v16
	v_cndmask_b32_e32 v16, v7, v10, vcc
	v_cmp_eq_u32_e32 vcc, 0, v25
	v_cndmask_b32_e32 v17, v11, v16, vcc
; %bb.299:                              ;   in Loop: Header=BB2_114 Depth=3
	s_or_b64 exec, exec, s[54:55]
.LBB2_300:                              ;   in Loop: Header=BB2_114 Depth=3
	s_or_b64 exec, exec, s[52:53]
.LBB2_301:                              ;   in Loop: Header=BB2_114 Depth=3
	s_or_b64 exec, exec, s[50:51]
	v_cmp_lt_u32_e32 vcc, s39, v54
	s_and_saveexec_b64 s[50:51], vcc
	s_cbranch_execz .LBB2_309
; %bb.302:                              ;   in Loop: Header=BB2_114 Depth=3
	v_cmp_ne_u32_e32 vcc, s68, v2
	v_bfrev_b32_e32 v23, 1
	s_and_saveexec_b64 s[52:53], vcc
	s_cbranch_execz .LBB2_308
; %bb.303:                              ;   in Loop: Header=BB2_114 Depth=3
	v_and_b32_e32 v23, 0x7c000000, v54
	v_bfe_u32 v16, v54, 24, 2
	v_cmp_ne_u32_e32 vcc, s72, v23
                                        ; implicit-def: $vgpr23
	s_and_saveexec_b64 s[54:55], vcc
	s_xor_b64 s[54:55], exec, s[54:55]
	s_cbranch_execz .LBB2_305
; %bb.304:                              ;   in Loop: Header=BB2_114 Depth=3
	v_ffbh_u32_e32 v24, v16
	v_min_u32_e32 v37, 32, v24
	v_bfe_u32 v23, v54, 26, 5
	v_subrev_u32_e32 v24, 29, v37
	v_lshlrev_b64 v[24:25], v24, v[2:3]
	v_sub_u32_e32 v2, 30, v37
	v_cmp_eq_u32_e32 vcc, 0, v23
	v_cndmask_b32_e32 v2, v23, v2, vcc
	v_and_b32_e32 v24, 3, v24
	v_lshl_add_u32 v2, v2, 23, v47
	v_cndmask_b32_e32 v16, v16, v24, vcc
	v_and_or_b32 v2, v54, s67, v2
	v_lshl_or_b32 v23, v16, 21, v2
                                        ; implicit-def: $vgpr16
.LBB2_305:                              ;   in Loop: Header=BB2_114 Depth=3
	s_andn2_saveexec_b64 s[54:55], s[54:55]
; %bb.306:                              ;   in Loop: Header=BB2_114 Depth=3
	v_cmp_lt_i32_e32 vcc, -1, v54
	v_cndmask_b32_e32 v2, v7, v10, vcc
	v_cmp_eq_u32_e32 vcc, 0, v16
	v_cndmask_b32_e32 v23, v11, v2, vcc
; %bb.307:                              ;   in Loop: Header=BB2_114 Depth=3
	s_or_b64 exec, exec, s[54:55]
.LBB2_308:                              ;   in Loop: Header=BB2_114 Depth=3
	s_or_b64 exec, exec, s[52:53]
.LBB2_309:                              ;   in Loop: Header=BB2_114 Depth=3
	s_or_b64 exec, exec, s[50:51]
	v_max_f32_e32 v2, v23, v23
	v_max_f32_e32 v16, v17, v17
	v_min_f32_e32 v17, v16, v2
.LBB2_310:                              ;   in Loop: Header=BB2_114 Depth=3
	s_or_b64 exec, exec, s[20:21]
	v_and_b32_sdwa v2, v17, s68 dst_sel:DWORD dst_unused:UNUSED_PAD src0_sel:BYTE_3 src1_sel:DWORD
	v_and_b32_e32 v24, 0x7f800000, v17
	v_mov_b32_e32 v25, v55
	v_and_b32_e32 v54, 0x7fffff, v17
	v_or_b32_e32 v23, 0x7b, v2
	v_cmp_ne_u64_e32 vcc, s[40:41], v[24:25]
	s_and_saveexec_b64 s[20:21], vcc
	s_xor_b64 s[50:51], exec, s[20:21]
	s_cbranch_execz .LBB2_320
; %bb.311:                              ;   in Loop: Header=BB2_114 Depth=3
	v_and_b32_e32 v24, 0x7fffffff, v17
	v_mov_b32_e32 v25, v55
	v_cmp_gt_u64_e32 vcc, s[42:43], v[24:25]
	s_and_saveexec_b64 s[52:53], vcc
	s_cbranch_execz .LBB2_319
; %bb.312:                              ;   in Loop: Header=BB2_114 Depth=3
	v_cmp_ne_u32_e32 vcc, 0, v17
	v_mov_b32_e32 v23, 0
	s_and_saveexec_b64 s[54:55], vcc
	s_cbranch_execz .LBB2_318
; %bb.313:                              ;   in Loop: Header=BB2_114 Depth=3
	v_bfe_u32 v16, v17, 23, 8
	v_sub_u32_e32 v23, 0x71, v16
	v_cmp_gt_u32_e32 vcc, s69, v16
	v_cndmask_b32_e32 v23, 0, v23, vcc
	v_cmp_eq_u32_e32 vcc, 0, v16
	v_or_b32_e32 v24, 0x800000, v54
	v_cndmask_b32_e32 v23, v23, v48, vcc
	v_add_u32_e32 v17, 0xffffff81, v16
	v_cndmask_b32_e32 v54, v24, v54, vcc
	v_add_u32_e32 v16, 21, v23
	v_cndmask_b32_e32 v25, v17, v30, vcc
	v_lshlrev_b64 v[16:17], v16, -1
	v_add_u32_e32 v24, 20, v23
	v_lshrrev_b64 v[40:41], v23, v[54:55]
	v_not_b32_e32 v17, v17
	v_not_b32_e32 v16, v16
	v_lshlrev_b64 v[50:51], v24, 1
	v_lshrrev_b32_e32 v24, 23, v40
	v_and_b32_e32 v17, 0, v17
	v_and_b32_e32 v16, v54, v16
	v_add3_u32 v25, v23, v25, v24
	v_bfe_u32 v23, v40, 21, 1
	v_add_u32_e32 v23, -1, v23
	v_cmp_eq_u64_e32 vcc, v[16:17], v[50:51]
	v_cndmask_b32_e32 v16, 0, v23, vcc
	v_add_u32_e32 v16, v16, v40
	v_and_b32_e32 v16, 0x1fffff, v16
	v_add_co_u32_e32 v16, vcc, v16, v40
	v_add_u32_e32 v24, 14, v25
	v_addc_co_u32_e32 v17, vcc, 0, v41, vcc
	v_cmp_ne_u32_e32 vcc, 0, v24
                                        ; implicit-def: $vgpr23
	s_and_saveexec_b64 s[20:21], vcc
	s_xor_b64 s[20:21], exec, s[20:21]
; %bb.314:                              ;   in Loop: Header=BB2_114 Depth=3
	v_add_u32_e32 v23, 15, v25
	v_cmp_lt_u64_e32 vcc, s[44:45], v[16:17]
	v_cndmask_b32_e32 v23, v24, v23, vcc
	v_cndmask_b32_e64 v24, 0, 1, vcc
	v_lshrrev_b64 v[16:17], v24, v[16:17]
; %bb.315:                              ;   in Loop: Header=BB2_114 Depth=3
	s_andn2_saveexec_b64 s[20:21], s[20:21]
; %bb.316:                              ;   in Loop: Header=BB2_114 Depth=3
	v_bfe_u32 v23, v16, 23, 1
; %bb.317:                              ;   in Loop: Header=BB2_114 Depth=3
	s_or_b64 exec, exec, s[20:21]
	v_lshrrev_b64 v[16:17], 21, v[16:17]
	v_cmp_gt_i32_e32 vcc, 32, v23
	v_cndmask_b32_e32 v17, 0, v17, vcc
	v_cndmask_b32_e32 v16, 3, v16, vcc
	v_cmp_eq_u64_e64 s[20:21], 0, v[16:17]
	v_min_i32_e32 v17, 31, v23
	v_cmp_eq_u32_e32 vcc, 0, v23
	v_lshlrev_b32_e32 v17, 2, v17
	v_and_or_b32 v16, v16, 3, v17
	s_and_b64 s[20:21], vcc, s[20:21]
	v_cndmask_b32_e64 v16, v16, 0, s[20:21]
	v_or_b32_e32 v23, v16, v2
.LBB2_318:                              ;   in Loop: Header=BB2_114 Depth=3
	s_or_b64 exec, exec, s[54:55]
.LBB2_319:                              ;   in Loop: Header=BB2_114 Depth=3
	s_or_b64 exec, exec, s[52:53]
                                        ; implicit-def: $vgpr17
.LBB2_320:                              ;   in Loop: Header=BB2_114 Depth=3
	s_andn2_saveexec_b64 s[20:21], s[50:51]
; %bb.321:                              ;   in Loop: Header=BB2_114 Depth=3
	v_or_b32_sdwa v2, v17, s70 dst_sel:DWORD dst_unused:UNUSED_PAD src0_sel:BYTE_3 src1_sel:DWORD
	v_cmp_eq_u64_e32 vcc, 0, v[54:55]
	v_cndmask_b32_e32 v23, v2, v23, vcc
; %bb.322:                              ;   in Loop: Header=BB2_114 Depth=3
	s_or_b64 exec, exec, s[20:21]
	v_alignbit_b32 v54, v46, v22, v36
	v_cmp_ne_u16_sdwa s[20:21], v18, v55 src0_sel:BYTE_0 src1_sel:DWORD
                                        ; implicit-def: $vgpr24
	s_and_saveexec_b64 vcc, s[14:15]
	s_xor_b64 s[50:51], exec, vcc
	s_cbranch_execz .LBB2_340
; %bb.323:                              ;   in Loop: Header=BB2_114 Depth=3
	v_mov_b32_e32 v16, 0
	v_mov_b32_e32 v2, 0
	s_and_saveexec_b64 s[52:53], s[20:21]
	s_cbranch_execz .LBB2_331
; %bb.324:                              ;   in Loop: Header=BB2_114 Depth=3
	v_cmp_ne_u16_sdwa vcc, sext(v18), s65 src0_sel:BYTE_0 src1_sel:DWORD
	v_bfrev_b32_e32 v2, 1
	s_and_saveexec_b64 s[54:55], vcc
	s_cbranch_execz .LBB2_330
; %bb.325:                              ;   in Loop: Header=BB2_114 Depth=3
	v_and_b32_e32 v2, 0x7c, v18
	v_and_b32_e32 v17, 3, v18
	v_cmp_ne_u32_e32 vcc, s66, v2
                                        ; implicit-def: $vgpr2
	s_and_saveexec_b64 s[56:57], vcc
	s_xor_b64 s[56:57], exec, s[56:57]
	s_cbranch_execz .LBB2_327
; %bb.326:                              ;   in Loop: Header=BB2_114 Depth=3
	v_ffbh_u32_e32 v22, v17
	v_bfe_u32 v2, v18, 2, 5
	v_min_u32_e32 v22, 32, v22
	v_subrev_u32_e32 v24, 29, v22
	v_sub_u32_e32 v22, 30, v22
	v_cmp_eq_u32_e32 vcc, 0, v2
	v_lshlrev_b64 v[24:25], v24, v[18:19]
	v_cndmask_b32_e32 v2, v2, v22, vcc
	v_and_b32_e32 v24, 3, v24
	v_lshlrev_b32_e32 v22, 24, v18
	v_lshl_add_u32 v2, v2, 23, v47
	v_cndmask_b32_e32 v17, v17, v24, vcc
	v_and_or_b32 v2, v22, s67, v2
	v_lshl_or_b32 v2, v17, 21, v2
                                        ; implicit-def: $vgpr17
.LBB2_327:                              ;   in Loop: Header=BB2_114 Depth=3
	s_andn2_saveexec_b64 s[56:57], s[56:57]
; %bb.328:                              ;   in Loop: Header=BB2_114 Depth=3
	v_cmp_gt_i16_sdwa vcc, sext(v18), v6 src0_sel:BYTE_0 src1_sel:DWORD
	v_cndmask_b32_e32 v2, v7, v10, vcc
	v_cmp_eq_u32_e32 vcc, 0, v17
	v_cndmask_b32_e32 v2, v11, v2, vcc
; %bb.329:                              ;   in Loop: Header=BB2_114 Depth=3
	s_or_b64 exec, exec, s[56:57]
.LBB2_330:                              ;   in Loop: Header=BB2_114 Depth=3
	s_or_b64 exec, exec, s[54:55]
.LBB2_331:                              ;   in Loop: Header=BB2_114 Depth=3
	s_or_b64 exec, exec, s[52:53]
	v_cmp_ne_u16_sdwa vcc, sext(v54), v55 src0_sel:BYTE_0 src1_sel:DWORD
	s_and_saveexec_b64 s[52:53], vcc
	s_cbranch_execz .LBB2_339
; %bb.332:                              ;   in Loop: Header=BB2_114 Depth=3
	v_cmp_ne_u16_sdwa vcc, sext(v54), s65 src0_sel:BYTE_0 src1_sel:DWORD
	v_bfrev_b32_e32 v16, 1
	s_and_saveexec_b64 s[54:55], vcc
	s_cbranch_execz .LBB2_338
; %bb.333:                              ;   in Loop: Header=BB2_114 Depth=3
	v_and_b32_e32 v16, 0x7c, v54
	v_and_b32_e32 v17, 3, v54
	v_cmp_ne_u32_e32 vcc, s66, v16
                                        ; implicit-def: $vgpr16
	s_and_saveexec_b64 s[56:57], vcc
	s_xor_b64 s[56:57], exec, s[56:57]
	s_cbranch_execz .LBB2_335
; %bb.334:                              ;   in Loop: Header=BB2_114 Depth=3
	v_ffbh_u32_e32 v22, v17
	v_bfe_u32 v16, v54, 2, 5
	v_min_u32_e32 v22, 32, v22
	v_subrev_u32_e32 v24, 29, v22
	v_sub_u32_e32 v22, 30, v22
	v_cmp_eq_u32_e32 vcc, 0, v16
	v_lshlrev_b64 v[24:25], v24, v[54:55]
	v_cndmask_b32_e32 v16, v16, v22, vcc
	v_and_b32_e32 v24, 3, v24
	v_lshlrev_b32_e32 v22, 24, v54
	v_lshl_add_u32 v16, v16, 23, v47
	v_cndmask_b32_e32 v17, v17, v24, vcc
	v_and_or_b32 v16, v22, s67, v16
	v_lshl_or_b32 v16, v17, 21, v16
                                        ; implicit-def: $vgpr17
.LBB2_335:                              ;   in Loop: Header=BB2_114 Depth=3
	s_andn2_saveexec_b64 s[56:57], s[56:57]
; %bb.336:                              ;   in Loop: Header=BB2_114 Depth=3
	v_cmp_gt_i16_sdwa vcc, sext(v54), v6 src0_sel:BYTE_0 src1_sel:DWORD
	v_cndmask_b32_e32 v16, v7, v10, vcc
	v_cmp_eq_u32_e32 vcc, 0, v17
	v_cndmask_b32_e32 v16, v11, v16, vcc
; %bb.337:                              ;   in Loop: Header=BB2_114 Depth=3
	s_or_b64 exec, exec, s[56:57]
.LBB2_338:                              ;   in Loop: Header=BB2_114 Depth=3
	s_or_b64 exec, exec, s[54:55]
.LBB2_339:                              ;   in Loop: Header=BB2_114 Depth=3
	s_or_b64 exec, exec, s[52:53]
	v_max_f32_e32 v16, v16, v16
	v_max_f32_e32 v2, v2, v2
	;; [unrolled: 1-line block ×3, first 2 shown]
.LBB2_340:                              ;   in Loop: Header=BB2_114 Depth=3
	s_andn2_saveexec_b64 s[50:51], s[50:51]
	s_cbranch_execz .LBB2_358
; %bb.341:                              ;   in Loop: Header=BB2_114 Depth=3
	v_mov_b32_e32 v16, 0
	v_mov_b32_e32 v2, 0
	s_and_saveexec_b64 s[52:53], s[20:21]
	s_cbranch_execz .LBB2_349
; %bb.342:                              ;   in Loop: Header=BB2_114 Depth=3
	v_cmp_ne_u16_sdwa vcc, sext(v18), s65 src0_sel:BYTE_0 src1_sel:DWORD
	v_bfrev_b32_e32 v2, 1
	s_and_saveexec_b64 s[20:21], vcc
	s_cbranch_execz .LBB2_348
; %bb.343:                              ;   in Loop: Header=BB2_114 Depth=3
	v_and_b32_e32 v2, 0x7c, v18
	v_and_b32_e32 v17, 3, v18
	v_cmp_ne_u32_e32 vcc, s66, v2
                                        ; implicit-def: $vgpr2
	s_and_saveexec_b64 s[54:55], vcc
	s_xor_b64 s[54:55], exec, s[54:55]
	s_cbranch_execz .LBB2_345
; %bb.344:                              ;   in Loop: Header=BB2_114 Depth=3
	v_ffbh_u32_e32 v22, v17
	v_min_u32_e32 v22, 32, v22
	v_bfe_u32 v2, v18, 2, 5
	v_subrev_u32_e32 v24, 29, v22
	v_lshlrev_b64 v[24:25], v24, v[18:19]
	v_sub_u32_e32 v19, 30, v22
	v_cmp_eq_u32_e32 vcc, 0, v2
	v_cndmask_b32_e32 v2, v2, v19, vcc
	v_and_b32_e32 v22, 3, v24
	v_lshlrev_b32_e32 v19, 24, v18
	v_lshl_add_u32 v2, v2, 23, v47
	v_cndmask_b32_e32 v17, v17, v22, vcc
	v_and_or_b32 v2, v19, s67, v2
	v_lshl_or_b32 v2, v17, 21, v2
                                        ; implicit-def: $vgpr17
.LBB2_345:                              ;   in Loop: Header=BB2_114 Depth=3
	s_andn2_saveexec_b64 s[54:55], s[54:55]
; %bb.346:                              ;   in Loop: Header=BB2_114 Depth=3
	v_cmp_gt_i16_sdwa vcc, sext(v18), v6 src0_sel:BYTE_0 src1_sel:DWORD
	v_cndmask_b32_e32 v2, v7, v10, vcc
	v_cmp_eq_u32_e32 vcc, 0, v17
	v_cndmask_b32_e32 v2, v11, v2, vcc
; %bb.347:                              ;   in Loop: Header=BB2_114 Depth=3
	s_or_b64 exec, exec, s[54:55]
.LBB2_348:                              ;   in Loop: Header=BB2_114 Depth=3
	s_or_b64 exec, exec, s[20:21]
.LBB2_349:                              ;   in Loop: Header=BB2_114 Depth=3
	s_or_b64 exec, exec, s[52:53]
	v_cmp_ne_u16_sdwa vcc, sext(v54), v55 src0_sel:BYTE_0 src1_sel:DWORD
	s_and_saveexec_b64 s[20:21], vcc
	s_cbranch_execz .LBB2_357
; %bb.350:                              ;   in Loop: Header=BB2_114 Depth=3
	v_cmp_ne_u16_sdwa vcc, sext(v54), s65 src0_sel:BYTE_0 src1_sel:DWORD
	v_bfrev_b32_e32 v16, 1
	s_and_saveexec_b64 s[52:53], vcc
	s_cbranch_execz .LBB2_356
; %bb.351:                              ;   in Loop: Header=BB2_114 Depth=3
	v_and_b32_e32 v16, 0x7c, v54
	v_and_b32_e32 v17, 3, v54
	v_cmp_ne_u32_e32 vcc, s66, v16
                                        ; implicit-def: $vgpr16
	s_and_saveexec_b64 s[54:55], vcc
	s_xor_b64 s[54:55], exec, s[54:55]
	s_cbranch_execz .LBB2_353
; %bb.352:                              ;   in Loop: Header=BB2_114 Depth=3
	v_ffbh_u32_e32 v19, v17
	v_bfe_u32 v16, v54, 2, 5
	v_min_u32_e32 v19, 32, v19
	v_subrev_u32_e32 v22, 29, v19
	v_sub_u32_e32 v19, 30, v19
	v_cmp_eq_u32_e32 vcc, 0, v16
	v_lshlrev_b64 v[24:25], v22, v[54:55]
	v_cndmask_b32_e32 v16, v16, v19, vcc
	v_and_b32_e32 v22, 3, v24
	v_lshlrev_b32_e32 v19, 24, v54
	v_lshl_add_u32 v16, v16, 23, v47
	v_cndmask_b32_e32 v17, v17, v22, vcc
	v_and_or_b32 v16, v19, s67, v16
	v_lshl_or_b32 v16, v17, 21, v16
                                        ; implicit-def: $vgpr17
.LBB2_353:                              ;   in Loop: Header=BB2_114 Depth=3
	s_andn2_saveexec_b64 s[54:55], s[54:55]
; %bb.354:                              ;   in Loop: Header=BB2_114 Depth=3
	v_cmp_gt_i16_sdwa vcc, sext(v54), v6 src0_sel:BYTE_0 src1_sel:DWORD
	v_cndmask_b32_e32 v16, v7, v10, vcc
	v_cmp_eq_u32_e32 vcc, 0, v17
	v_cndmask_b32_e32 v16, v11, v16, vcc
; %bb.355:                              ;   in Loop: Header=BB2_114 Depth=3
	s_or_b64 exec, exec, s[54:55]
.LBB2_356:                              ;   in Loop: Header=BB2_114 Depth=3
	s_or_b64 exec, exec, s[52:53]
.LBB2_357:                              ;   in Loop: Header=BB2_114 Depth=3
	s_or_b64 exec, exec, s[20:21]
	v_max_f32_e32 v16, v16, v16
	v_max_f32_e32 v2, v2, v2
	v_min_f32_e32 v24, v2, v16
.LBB2_358:                              ;   in Loop: Header=BB2_114 Depth=3
	s_or_b64 exec, exec, s[50:51]
	v_and_b32_sdwa v2, v24, s68 dst_sel:DWORD dst_unused:UNUSED_PAD src0_sel:BYTE_3 src1_sel:DWORD
	v_and_b32_e32 v36, 0x7f800000, v24
	v_mov_b32_e32 v37, v55
	v_and_b32_e32 v16, 0x7fffff, v24
	v_mov_b32_e32 v17, v55
	v_or_b32_e32 v22, 0x7b, v2
	v_cmp_ne_u64_e32 vcc, s[40:41], v[36:37]
	s_and_saveexec_b64 s[20:21], vcc
	s_xor_b64 s[50:51], exec, s[20:21]
	s_cbranch_execz .LBB2_368
; %bb.359:                              ;   in Loop: Header=BB2_114 Depth=3
	v_and_b32_e32 v36, 0x7fffffff, v24
	v_mov_b32_e32 v37, v55
	v_cmp_gt_u64_e32 vcc, s[42:43], v[36:37]
	s_and_saveexec_b64 s[52:53], vcc
	s_cbranch_execz .LBB2_367
; %bb.360:                              ;   in Loop: Header=BB2_114 Depth=3
	v_cmp_ne_u32_e32 vcc, 0, v24
	v_mov_b32_e32 v22, 0
	s_and_saveexec_b64 s[54:55], vcc
	s_cbranch_execz .LBB2_366
; %bb.361:                              ;   in Loop: Header=BB2_114 Depth=3
	v_bfe_u32 v19, v24, 23, 8
	v_sub_u32_e32 v24, 0x71, v19
	v_cmp_gt_u32_e32 vcc, s69, v19
	v_add_u32_e32 v22, 0xffffff81, v19
	v_cndmask_b32_e32 v24, 0, v24, vcc
	v_cmp_eq_u32_e32 vcc, 0, v19
	v_cndmask_b32_e32 v19, v22, v30, vcc
	v_cndmask_b32_e32 v22, v24, v48, vcc
	v_or_b32_e32 v25, 0x800000, v16
	v_add_u32_e32 v24, 21, v22
	v_cndmask_b32_e32 v16, v25, v16, vcc
	v_lshlrev_b64 v[24:25], v24, -1
	v_not_b32_e32 v24, v24
	v_and_b32_e32 v36, v16, v24
	v_add_u32_e32 v24, 20, v22
	v_lshrrev_b64 v[16:17], v22, v[16:17]
	v_not_b32_e32 v25, v25
	v_lshlrev_b64 v[50:51], v24, 1
	v_lshrrev_b32_e32 v24, 23, v16
	v_and_b32_e32 v37, 0, v25
	v_add3_u32 v24, v22, v19, v24
	v_bfe_u32 v19, v16, 21, 1
	v_add_u32_e32 v19, -1, v19
	v_cmp_eq_u64_e32 vcc, v[36:37], v[50:51]
	v_cndmask_b32_e32 v19, 0, v19, vcc
	v_add_u32_e32 v19, v19, v16
	v_and_b32_e32 v19, 0x1fffff, v19
	v_add_co_u32_e32 v16, vcc, v19, v16
	v_add_u32_e32 v22, 14, v24
	v_addc_co_u32_e32 v17, vcc, 0, v17, vcc
	v_cmp_ne_u32_e32 vcc, 0, v22
                                        ; implicit-def: $vgpr19
	s_and_saveexec_b64 s[20:21], vcc
	s_xor_b64 s[20:21], exec, s[20:21]
; %bb.362:                              ;   in Loop: Header=BB2_114 Depth=3
	v_add_u32_e32 v19, 15, v24
	v_cmp_lt_u64_e32 vcc, s[44:45], v[16:17]
	v_cndmask_b32_e32 v19, v22, v19, vcc
	v_cndmask_b32_e64 v22, 0, 1, vcc
	v_lshrrev_b64 v[16:17], v22, v[16:17]
; %bb.363:                              ;   in Loop: Header=BB2_114 Depth=3
	s_andn2_saveexec_b64 s[20:21], s[20:21]
; %bb.364:                              ;   in Loop: Header=BB2_114 Depth=3
	v_bfe_u32 v19, v16, 23, 1
; %bb.365:                              ;   in Loop: Header=BB2_114 Depth=3
	s_or_b64 exec, exec, s[20:21]
	v_lshrrev_b64 v[16:17], 21, v[16:17]
	v_cmp_gt_i32_e32 vcc, 32, v19
	v_cndmask_b32_e32 v17, 0, v17, vcc
	v_cndmask_b32_e32 v16, 3, v16, vcc
	v_cmp_eq_u64_e64 s[20:21], 0, v[16:17]
	v_min_i32_e32 v17, 31, v19
	v_cmp_eq_u32_e32 vcc, 0, v19
	v_lshlrev_b32_e32 v17, 2, v17
	v_and_or_b32 v16, v16, 3, v17
	s_and_b64 s[20:21], vcc, s[20:21]
	v_cndmask_b32_e64 v16, v16, 0, s[20:21]
	v_or_b32_e32 v22, v16, v2
.LBB2_366:                              ;   in Loop: Header=BB2_114 Depth=3
	s_or_b64 exec, exec, s[54:55]
.LBB2_367:                              ;   in Loop: Header=BB2_114 Depth=3
	s_or_b64 exec, exec, s[52:53]
                                        ; implicit-def: $vgpr24
                                        ; implicit-def: $vgpr16_vgpr17
.LBB2_368:                              ;   in Loop: Header=BB2_114 Depth=3
	s_andn2_saveexec_b64 s[20:21], s[50:51]
; %bb.369:                              ;   in Loop: Header=BB2_114 Depth=3
	v_or_b32_sdwa v2, v24, s70 dst_sel:DWORD dst_unused:UNUSED_PAD src0_sel:BYTE_3 src1_sel:DWORD
	v_cmp_eq_u64_e32 vcc, 0, v[16:17]
	v_cndmask_b32_e32 v22, v2, v22, vcc
; %bb.370:                              ;   in Loop: Header=BB2_114 Depth=3
	s_or_b64 exec, exec, s[20:21]
	v_lshrrev_b16_e32 v24, 8, v18
	v_lshrrev_b16_e32 v16, 8, v54
	v_cmp_ne_u16_e32 vcc, 0, v24
                                        ; implicit-def: $vgpr19
	s_and_saveexec_b64 s[20:21], s[14:15]
	s_xor_b64 s[50:51], exec, s[20:21]
	s_cbranch_execz .LBB2_388
; %bb.371:                              ;   in Loop: Header=BB2_114 Depth=3
	v_mov_b32_e32 v17, 0
	v_mov_b32_e32 v2, 0
	s_and_saveexec_b64 s[52:53], vcc
	s_cbranch_execz .LBB2_379
; %bb.372:                              ;   in Loop: Header=BB2_114 Depth=3
	v_cmp_ne_u16_e64 s[20:21], s68, v24
	v_bfrev_b32_e32 v2, 1
	s_and_saveexec_b64 s[54:55], s[20:21]
	s_cbranch_execz .LBB2_378
; %bb.373:                              ;   in Loop: Header=BB2_114 Depth=3
	v_and_b32_e32 v2, 0x7c, v24
	v_and_b32_e32 v19, 3, v24
	v_cmp_ne_u32_e64 s[20:21], s66, v2
                                        ; implicit-def: $vgpr2
	s_and_saveexec_b64 s[56:57], s[20:21]
	s_xor_b64 s[56:57], exec, s[56:57]
	s_cbranch_execz .LBB2_375
; %bb.374:                              ;   in Loop: Header=BB2_114 Depth=3
	v_ffbh_u32_e32 v36, v19
	v_min_u32_e32 v36, 32, v36
	v_mov_b32_e32 v25, v55
	v_subrev_u32_e32 v37, 29, v36
	v_bfe_u32 v2, v24, 2, 5
	v_lshlrev_b64 v[24:25], v37, v[24:25]
	v_sub_u32_e32 v25, 30, v36
	v_cmp_eq_u32_e64 s[20:21], 0, v2
	v_and_b32_e32 v24, 3, v24
	v_cndmask_b32_e64 v2, v2, v25, s[20:21]
	v_cndmask_b32_e64 v19, v19, v24, s[20:21]
	v_lshlrev_b32_e32 v24, 16, v18
	v_lshl_add_u32 v2, v2, 23, v47
	v_and_or_b32 v2, v24, s67, v2
	v_lshl_or_b32 v2, v19, 21, v2
                                        ; implicit-def: $vgpr19
.LBB2_375:                              ;   in Loop: Header=BB2_114 Depth=3
	s_andn2_saveexec_b64 s[56:57], s[56:57]
; %bb.376:                              ;   in Loop: Header=BB2_114 Depth=3
	v_cmp_lt_i16_e64 s[20:21], -1, v18
	v_cndmask_b32_e64 v2, v7, v10, s[20:21]
	v_cmp_eq_u32_e64 s[20:21], 0, v19
	v_cndmask_b32_e64 v2, v11, v2, s[20:21]
; %bb.377:                              ;   in Loop: Header=BB2_114 Depth=3
	s_or_b64 exec, exec, s[56:57]
.LBB2_378:                              ;   in Loop: Header=BB2_114 Depth=3
	s_or_b64 exec, exec, s[54:55]
.LBB2_379:                              ;   in Loop: Header=BB2_114 Depth=3
	s_or_b64 exec, exec, s[52:53]
	v_cmp_ne_u16_e64 s[20:21], 0, v16
	s_and_saveexec_b64 s[52:53], s[20:21]
	s_cbranch_execz .LBB2_387
; %bb.380:                              ;   in Loop: Header=BB2_114 Depth=3
	v_cmp_ne_u16_e64 s[20:21], s68, v16
	v_bfrev_b32_e32 v17, 1
	s_and_saveexec_b64 s[54:55], s[20:21]
	s_cbranch_execz .LBB2_386
; %bb.381:                              ;   in Loop: Header=BB2_114 Depth=3
	v_and_b32_e32 v17, 0x7c, v16
	v_and_b32_e32 v19, 3, v16
	v_cmp_ne_u32_e64 s[20:21], s66, v17
                                        ; implicit-def: $vgpr17
	s_and_saveexec_b64 s[56:57], s[20:21]
	s_xor_b64 s[56:57], exec, s[56:57]
	s_cbranch_execz .LBB2_383
; %bb.382:                              ;   in Loop: Header=BB2_114 Depth=3
	v_ffbh_u32_e32 v25, v19
	v_min_u32_e32 v25, 32, v25
	v_mov_b32_e32 v17, v55
	v_subrev_u32_e32 v36, 29, v25
	v_bfe_u32 v24, v16, 2, 5
	v_lshlrev_b64 v[16:17], v36, v[16:17]
	v_sub_u32_e32 v17, 30, v25
	v_cmp_eq_u32_e64 s[20:21], 0, v24
	v_and_b32_e32 v16, 3, v16
	v_cndmask_b32_e64 v17, v24, v17, s[20:21]
	v_cndmask_b32_e64 v16, v19, v16, s[20:21]
	v_lshlrev_b32_e32 v19, 16, v54
	v_lshl_add_u32 v17, v17, 23, v47
	v_and_or_b32 v17, v19, s67, v17
	v_lshl_or_b32 v17, v16, 21, v17
                                        ; implicit-def: $vgpr19
.LBB2_383:                              ;   in Loop: Header=BB2_114 Depth=3
	s_andn2_saveexec_b64 s[56:57], s[56:57]
; %bb.384:                              ;   in Loop: Header=BB2_114 Depth=3
	v_cmp_lt_i16_e64 s[20:21], -1, v54
	v_cndmask_b32_e64 v16, v7, v10, s[20:21]
	v_cmp_eq_u32_e64 s[20:21], 0, v19
	v_cndmask_b32_e64 v17, v11, v16, s[20:21]
; %bb.385:                              ;   in Loop: Header=BB2_114 Depth=3
	s_or_b64 exec, exec, s[56:57]
.LBB2_386:                              ;   in Loop: Header=BB2_114 Depth=3
	s_or_b64 exec, exec, s[54:55]
.LBB2_387:                              ;   in Loop: Header=BB2_114 Depth=3
	s_or_b64 exec, exec, s[52:53]
	v_max_f32_e32 v16, v17, v17
	v_max_f32_e32 v2, v2, v2
	;; [unrolled: 1-line block ×3, first 2 shown]
                                        ; implicit-def: $vgpr16
                                        ; implicit-def: $vgpr24
.LBB2_388:                              ;   in Loop: Header=BB2_114 Depth=3
	s_andn2_saveexec_b64 s[20:21], s[50:51]
	s_cbranch_execz .LBB2_406
; %bb.389:                              ;   in Loop: Header=BB2_114 Depth=3
	v_mov_b32_e32 v17, 0
	v_mov_b32_e32 v2, 0
	s_and_saveexec_b64 s[50:51], vcc
	s_cbranch_execz .LBB2_397
; %bb.390:                              ;   in Loop: Header=BB2_114 Depth=3
	v_cmp_ne_u16_e32 vcc, s68, v24
	v_bfrev_b32_e32 v2, 1
	s_and_saveexec_b64 s[52:53], vcc
	s_cbranch_execz .LBB2_396
; %bb.391:                              ;   in Loop: Header=BB2_114 Depth=3
	v_and_b32_e32 v2, 0x7c, v24
	v_and_b32_e32 v19, 3, v24
	v_cmp_ne_u32_e32 vcc, s66, v2
                                        ; implicit-def: $vgpr2
	s_and_saveexec_b64 s[54:55], vcc
	s_xor_b64 s[54:55], exec, s[54:55]
	s_cbranch_execz .LBB2_393
; %bb.392:                              ;   in Loop: Header=BB2_114 Depth=3
	v_ffbh_u32_e32 v36, v19
	v_min_u32_e32 v36, 32, v36
	v_mov_b32_e32 v25, v55
	v_subrev_u32_e32 v37, 29, v36
	v_bfe_u32 v2, v24, 2, 5
	v_lshlrev_b64 v[24:25], v37, v[24:25]
	v_sub_u32_e32 v25, 30, v36
	v_cmp_eq_u32_e32 vcc, 0, v2
	v_and_b32_e32 v24, 3, v24
	v_cndmask_b32_e32 v2, v2, v25, vcc
	v_cndmask_b32_e32 v19, v19, v24, vcc
	v_lshlrev_b32_e32 v24, 16, v18
	v_lshl_add_u32 v2, v2, 23, v47
	v_and_or_b32 v2, v24, s67, v2
	v_lshl_or_b32 v2, v19, 21, v2
                                        ; implicit-def: $vgpr19
.LBB2_393:                              ;   in Loop: Header=BB2_114 Depth=3
	s_andn2_saveexec_b64 s[54:55], s[54:55]
; %bb.394:                              ;   in Loop: Header=BB2_114 Depth=3
	v_cmp_lt_i16_e32 vcc, -1, v18
	v_cndmask_b32_e32 v2, v7, v10, vcc
	v_cmp_eq_u32_e32 vcc, 0, v19
	v_cndmask_b32_e32 v2, v11, v2, vcc
; %bb.395:                              ;   in Loop: Header=BB2_114 Depth=3
	s_or_b64 exec, exec, s[54:55]
.LBB2_396:                              ;   in Loop: Header=BB2_114 Depth=3
	s_or_b64 exec, exec, s[52:53]
.LBB2_397:                              ;   in Loop: Header=BB2_114 Depth=3
	s_or_b64 exec, exec, s[50:51]
	v_cmp_ne_u16_e32 vcc, 0, v16
	s_and_saveexec_b64 s[50:51], vcc
	s_cbranch_execz .LBB2_405
; %bb.398:                              ;   in Loop: Header=BB2_114 Depth=3
	v_cmp_ne_u16_e32 vcc, s68, v16
	v_bfrev_b32_e32 v17, 1
	s_and_saveexec_b64 s[52:53], vcc
	s_cbranch_execz .LBB2_404
; %bb.399:                              ;   in Loop: Header=BB2_114 Depth=3
	v_and_b32_e32 v17, 0x7c, v16
	v_and_b32_e32 v19, 3, v16
	v_cmp_ne_u32_e32 vcc, s66, v17
                                        ; implicit-def: $vgpr17
	s_and_saveexec_b64 s[54:55], vcc
	s_xor_b64 s[54:55], exec, s[54:55]
	s_cbranch_execz .LBB2_401
; %bb.400:                              ;   in Loop: Header=BB2_114 Depth=3
	v_ffbh_u32_e32 v25, v19
	v_min_u32_e32 v25, 32, v25
	v_mov_b32_e32 v17, v55
	v_subrev_u32_e32 v36, 29, v25
	v_bfe_u32 v24, v16, 2, 5
	v_lshlrev_b64 v[16:17], v36, v[16:17]
	v_sub_u32_e32 v17, 30, v25
	v_cmp_eq_u32_e32 vcc, 0, v24
	v_and_b32_e32 v16, 3, v16
	v_cndmask_b32_e32 v17, v24, v17, vcc
	v_cndmask_b32_e32 v16, v19, v16, vcc
	v_lshlrev_b32_e32 v19, 16, v54
	v_lshl_add_u32 v17, v17, 23, v47
	v_and_or_b32 v17, v19, s67, v17
	v_lshl_or_b32 v17, v16, 21, v17
                                        ; implicit-def: $vgpr19
.LBB2_401:                              ;   in Loop: Header=BB2_114 Depth=3
	s_andn2_saveexec_b64 s[54:55], s[54:55]
; %bb.402:                              ;   in Loop: Header=BB2_114 Depth=3
	v_cmp_lt_i16_e32 vcc, -1, v54
	v_cndmask_b32_e32 v16, v7, v10, vcc
	v_cmp_eq_u32_e32 vcc, 0, v19
	v_cndmask_b32_e32 v17, v11, v16, vcc
; %bb.403:                              ;   in Loop: Header=BB2_114 Depth=3
	s_or_b64 exec, exec, s[54:55]
.LBB2_404:                              ;   in Loop: Header=BB2_114 Depth=3
	s_or_b64 exec, exec, s[52:53]
.LBB2_405:                              ;   in Loop: Header=BB2_114 Depth=3
	s_or_b64 exec, exec, s[50:51]
	v_max_f32_e32 v16, v17, v17
	v_max_f32_e32 v2, v2, v2
	v_min_f32_e32 v19, v2, v16
.LBB2_406:                              ;   in Loop: Header=BB2_114 Depth=3
	s_or_b64 exec, exec, s[20:21]
	v_and_b32_sdwa v2, v19, s68 dst_sel:DWORD dst_unused:UNUSED_PAD src0_sel:BYTE_3 src1_sel:DWORD
	v_and_b32_e32 v36, 0x7f800000, v19
	v_mov_b32_e32 v37, v55
	v_and_b32_e32 v16, 0x7fffff, v19
	v_mov_b32_e32 v17, v55
	v_or_b32_e32 v25, 0x7b, v2
	v_cmp_ne_u64_e32 vcc, s[40:41], v[36:37]
	s_and_saveexec_b64 s[20:21], vcc
	s_xor_b64 s[50:51], exec, s[20:21]
	s_cbranch_execz .LBB2_416
; %bb.407:                              ;   in Loop: Header=BB2_114 Depth=3
	v_and_b32_e32 v36, 0x7fffffff, v19
	v_mov_b32_e32 v37, v55
	v_cmp_gt_u64_e32 vcc, s[42:43], v[36:37]
	s_and_saveexec_b64 s[52:53], vcc
	s_cbranch_execz .LBB2_415
; %bb.408:                              ;   in Loop: Header=BB2_114 Depth=3
	v_cmp_ne_u32_e32 vcc, 0, v19
	v_mov_b32_e32 v25, 0
	s_and_saveexec_b64 s[54:55], vcc
	s_cbranch_execz .LBB2_414
; %bb.409:                              ;   in Loop: Header=BB2_114 Depth=3
	v_bfe_u32 v19, v19, 23, 8
	v_sub_u32_e32 v25, 0x71, v19
	v_cmp_gt_u32_e32 vcc, s69, v19
	v_cndmask_b32_e32 v25, 0, v25, vcc
	v_cmp_eq_u32_e32 vcc, 0, v19
	v_add_u32_e32 v24, 0xffffff81, v19
	v_cndmask_b32_e32 v40, v25, v48, vcc
	v_cndmask_b32_e32 v19, v24, v30, vcc
	v_add_u32_e32 v24, 21, v40
	v_or_b32_e32 v36, 0x800000, v16
	v_lshlrev_b64 v[24:25], v24, -1
	v_cndmask_b32_e32 v16, v36, v16, vcc
	v_not_b32_e32 v24, v24
	v_and_b32_e32 v36, v16, v24
	v_add_u32_e32 v24, 20, v40
	v_lshrrev_b64 v[16:17], v40, v[16:17]
	v_not_b32_e32 v25, v25
	v_lshlrev_b64 v[50:51], v24, 1
	v_lshrrev_b32_e32 v24, 23, v16
	v_and_b32_e32 v37, 0, v25
	v_add3_u32 v25, v40, v19, v24
	v_bfe_u32 v19, v16, 21, 1
	v_add_u32_e32 v19, -1, v19
	v_cmp_eq_u64_e32 vcc, v[36:37], v[50:51]
	v_cndmask_b32_e32 v19, 0, v19, vcc
	v_add_u32_e32 v19, v19, v16
	v_and_b32_e32 v19, 0x1fffff, v19
	v_add_co_u32_e32 v16, vcc, v19, v16
	v_add_u32_e32 v24, 14, v25
	v_addc_co_u32_e32 v17, vcc, 0, v17, vcc
	v_cmp_ne_u32_e32 vcc, 0, v24
                                        ; implicit-def: $vgpr19
	s_and_saveexec_b64 s[20:21], vcc
	s_xor_b64 s[20:21], exec, s[20:21]
; %bb.410:                              ;   in Loop: Header=BB2_114 Depth=3
	v_add_u32_e32 v19, 15, v25
	v_cmp_lt_u64_e32 vcc, s[44:45], v[16:17]
	v_cndmask_b32_e32 v19, v24, v19, vcc
	v_cndmask_b32_e64 v24, 0, 1, vcc
	v_lshrrev_b64 v[16:17], v24, v[16:17]
; %bb.411:                              ;   in Loop: Header=BB2_114 Depth=3
	s_andn2_saveexec_b64 s[20:21], s[20:21]
; %bb.412:                              ;   in Loop: Header=BB2_114 Depth=3
	v_bfe_u32 v19, v16, 23, 1
; %bb.413:                              ;   in Loop: Header=BB2_114 Depth=3
	s_or_b64 exec, exec, s[20:21]
	v_lshrrev_b64 v[16:17], 21, v[16:17]
	v_cmp_gt_i32_e32 vcc, 32, v19
	v_cndmask_b32_e32 v17, 0, v17, vcc
	v_cndmask_b32_e32 v16, 3, v16, vcc
	v_cmp_eq_u64_e64 s[20:21], 0, v[16:17]
	v_min_i32_e32 v17, 31, v19
	v_cmp_eq_u32_e32 vcc, 0, v19
	v_lshlrev_b32_e32 v17, 2, v17
	v_and_or_b32 v16, v16, 3, v17
	s_and_b64 s[20:21], vcc, s[20:21]
	v_cndmask_b32_e64 v16, v16, 0, s[20:21]
	v_or_b32_e32 v25, v16, v2
.LBB2_414:                              ;   in Loop: Header=BB2_114 Depth=3
	s_or_b64 exec, exec, s[54:55]
.LBB2_415:                              ;   in Loop: Header=BB2_114 Depth=3
	s_or_b64 exec, exec, s[52:53]
                                        ; implicit-def: $vgpr19
                                        ; implicit-def: $vgpr16_vgpr17
.LBB2_416:                              ;   in Loop: Header=BB2_114 Depth=3
	s_andn2_saveexec_b64 s[20:21], s[50:51]
; %bb.417:                              ;   in Loop: Header=BB2_114 Depth=3
	v_or_b32_sdwa v2, v19, s70 dst_sel:DWORD dst_unused:UNUSED_PAD src0_sel:BYTE_3 src1_sel:DWORD
	v_cmp_eq_u64_e32 vcc, 0, v[16:17]
	v_cndmask_b32_e32 v25, v2, v25, vcc
; %bb.418:                              ;   in Loop: Header=BB2_114 Depth=3
	s_or_b64 exec, exec, s[20:21]
	v_lshrrev_b32_e32 v16, 16, v18
	v_lshrrev_b32_e32 v2, 16, v54
	v_cmp_ne_u16_sdwa s[20:21], v16, v55 src0_sel:BYTE_0 src1_sel:DWORD
                                        ; implicit-def: $vgpr19
	s_and_saveexec_b64 vcc, s[14:15]
	s_xor_b64 s[50:51], exec, vcc
	s_cbranch_execz .LBB2_436
; %bb.419:                              ;   in Loop: Header=BB2_114 Depth=3
	v_mov_b32_e32 v19, 0
	v_mov_b32_e32 v17, 0
	s_and_saveexec_b64 s[52:53], s[20:21]
	s_cbranch_execz .LBB2_427
; %bb.420:                              ;   in Loop: Header=BB2_114 Depth=3
	v_cmp_ne_u16_sdwa vcc, v16, s68 src0_sel:BYTE_0 src1_sel:DWORD
	v_bfrev_b32_e32 v17, 1
	s_and_saveexec_b64 s[54:55], vcc
	s_cbranch_execz .LBB2_426
; %bb.421:                              ;   in Loop: Header=BB2_114 Depth=3
	v_and_b32_e32 v17, 0x7c0000, v18
	v_bfe_u32 v24, v18, 16, 2
	v_cmp_ne_u32_e32 vcc, s71, v17
                                        ; implicit-def: $vgpr17
	s_and_saveexec_b64 s[56:57], vcc
	s_xor_b64 s[56:57], exec, s[56:57]
	s_cbranch_execz .LBB2_423
; %bb.422:                              ;   in Loop: Header=BB2_114 Depth=3
	v_ffbh_u32_e32 v36, v24
	v_min_u32_e32 v50, 32, v36
	v_bfe_u32 v17, v18, 18, 5
	v_subrev_u32_e32 v36, 29, v50
	v_lshlrev_b64 v[36:37], v36, v[16:17]
	v_sub_u32_e32 v37, 30, v50
	v_cmp_eq_u32_e32 vcc, 0, v17
	v_cndmask_b32_e32 v17, v17, v37, vcc
	v_and_b32_e32 v36, 3, v36
	v_lshlrev_b32_e32 v16, 24, v16
	v_lshl_add_u32 v17, v17, 23, v47
	v_cndmask_b32_e32 v24, v24, v36, vcc
	v_and_or_b32 v16, v16, s67, v17
	v_lshl_or_b32 v17, v24, 21, v16
                                        ; implicit-def: $vgpr24
                                        ; implicit-def: $vgpr16
.LBB2_423:                              ;   in Loop: Header=BB2_114 Depth=3
	s_andn2_saveexec_b64 s[56:57], s[56:57]
; %bb.424:                              ;   in Loop: Header=BB2_114 Depth=3
	v_cmp_gt_i16_sdwa vcc, sext(v16), v6 src0_sel:BYTE_0 src1_sel:DWORD
	v_cndmask_b32_e32 v16, v7, v10, vcc
	v_cmp_eq_u32_e32 vcc, 0, v24
	v_cndmask_b32_e32 v17, v11, v16, vcc
; %bb.425:                              ;   in Loop: Header=BB2_114 Depth=3
	s_or_b64 exec, exec, s[56:57]
.LBB2_426:                              ;   in Loop: Header=BB2_114 Depth=3
	s_or_b64 exec, exec, s[54:55]
.LBB2_427:                              ;   in Loop: Header=BB2_114 Depth=3
	s_or_b64 exec, exec, s[52:53]
	v_and_b32_sdwa v16, v54, s64 dst_sel:DWORD dst_unused:UNUSED_PAD src0_sel:WORD_1 src1_sel:DWORD
	v_cmp_ne_u16_e32 vcc, 0, v16
	s_and_saveexec_b64 s[52:53], vcc
	s_cbranch_execz .LBB2_435
; %bb.428:                              ;   in Loop: Header=BB2_114 Depth=3
	v_cmp_ne_u16_e32 vcc, s68, v16
	v_bfrev_b32_e32 v19, 1
	s_and_saveexec_b64 s[54:55], vcc
	s_cbranch_execz .LBB2_434
; %bb.429:                              ;   in Loop: Header=BB2_114 Depth=3
	v_and_b32_e32 v19, 0x7c0000, v54
	v_bfe_u32 v16, v54, 16, 2
	v_cmp_ne_u32_e32 vcc, s71, v19
                                        ; implicit-def: $vgpr19
	s_and_saveexec_b64 s[56:57], vcc
	s_xor_b64 s[56:57], exec, s[56:57]
	s_cbranch_execz .LBB2_431
; %bb.430:                              ;   in Loop: Header=BB2_114 Depth=3
	v_ffbh_u32_e32 v24, v16
	v_bfe_u32 v19, v54, 18, 5
	v_min_u32_e32 v24, 32, v24
	v_subrev_u32_e32 v36, 29, v24
	v_sub_u32_e32 v24, 30, v24
	v_cmp_eq_u32_e32 vcc, 0, v19
	v_lshlrev_b64 v[36:37], v36, v[2:3]
	v_cndmask_b32_e32 v19, v19, v24, vcc
	v_and_b32_e32 v36, 3, v36
	v_lshlrev_b32_e32 v2, 24, v2
	v_lshl_add_u32 v19, v19, 23, v47
	v_cndmask_b32_e32 v16, v16, v36, vcc
	v_and_or_b32 v2, v2, s67, v19
	v_lshl_or_b32 v19, v16, 21, v2
                                        ; implicit-def: $vgpr16
                                        ; implicit-def: $vgpr2
.LBB2_431:                              ;   in Loop: Header=BB2_114 Depth=3
	s_andn2_saveexec_b64 s[56:57], s[56:57]
; %bb.432:                              ;   in Loop: Header=BB2_114 Depth=3
	v_cmp_gt_i16_sdwa vcc, sext(v2), v6 src0_sel:BYTE_0 src1_sel:DWORD
	v_cndmask_b32_e32 v2, v7, v10, vcc
	v_cmp_eq_u32_e32 vcc, 0, v16
	v_cndmask_b32_e32 v19, v11, v2, vcc
; %bb.433:                              ;   in Loop: Header=BB2_114 Depth=3
	s_or_b64 exec, exec, s[56:57]
.LBB2_434:                              ;   in Loop: Header=BB2_114 Depth=3
	s_or_b64 exec, exec, s[54:55]
.LBB2_435:                              ;   in Loop: Header=BB2_114 Depth=3
	s_or_b64 exec, exec, s[52:53]
	v_max_f32_e32 v2, v19, v19
	v_max_f32_e32 v16, v17, v17
	;; [unrolled: 1-line block ×3, first 2 shown]
                                        ; implicit-def: $vgpr16
                                        ; implicit-def: $vgpr2
.LBB2_436:                              ;   in Loop: Header=BB2_114 Depth=3
	s_andn2_saveexec_b64 s[50:51], s[50:51]
	s_cbranch_execz .LBB2_454
; %bb.437:                              ;   in Loop: Header=BB2_114 Depth=3
	v_mov_b32_e32 v19, 0
	v_mov_b32_e32 v17, 0
	s_and_saveexec_b64 s[52:53], s[20:21]
	s_cbranch_execz .LBB2_445
; %bb.438:                              ;   in Loop: Header=BB2_114 Depth=3
	v_cmp_ne_u16_sdwa vcc, v16, s68 src0_sel:BYTE_0 src1_sel:DWORD
	v_bfrev_b32_e32 v17, 1
	s_and_saveexec_b64 s[20:21], vcc
	s_cbranch_execz .LBB2_444
; %bb.439:                              ;   in Loop: Header=BB2_114 Depth=3
	v_and_b32_e32 v17, 0x7c0000, v18
	v_bfe_u32 v24, v18, 16, 2
	v_cmp_ne_u32_e32 vcc, s71, v17
                                        ; implicit-def: $vgpr17
	s_and_saveexec_b64 s[54:55], vcc
	s_xor_b64 s[54:55], exec, s[54:55]
	s_cbranch_execz .LBB2_441
; %bb.440:                              ;   in Loop: Header=BB2_114 Depth=3
	v_ffbh_u32_e32 v36, v24
	v_min_u32_e32 v50, 32, v36
	v_bfe_u32 v17, v18, 18, 5
	v_subrev_u32_e32 v36, 29, v50
	v_lshlrev_b64 v[36:37], v36, v[16:17]
	v_sub_u32_e32 v37, 30, v50
	v_cmp_eq_u32_e32 vcc, 0, v17
	v_cndmask_b32_e32 v17, v17, v37, vcc
	v_and_b32_e32 v36, 3, v36
	v_lshlrev_b32_e32 v16, 24, v16
	v_lshl_add_u32 v17, v17, 23, v47
	v_cndmask_b32_e32 v24, v24, v36, vcc
	v_and_or_b32 v16, v16, s67, v17
	v_lshl_or_b32 v17, v24, 21, v16
                                        ; implicit-def: $vgpr24
                                        ; implicit-def: $vgpr16
.LBB2_441:                              ;   in Loop: Header=BB2_114 Depth=3
	s_andn2_saveexec_b64 s[54:55], s[54:55]
; %bb.442:                              ;   in Loop: Header=BB2_114 Depth=3
	v_cmp_gt_i16_sdwa vcc, sext(v16), v6 src0_sel:BYTE_0 src1_sel:DWORD
	v_cndmask_b32_e32 v16, v7, v10, vcc
	v_cmp_eq_u32_e32 vcc, 0, v24
	v_cndmask_b32_e32 v17, v11, v16, vcc
; %bb.443:                              ;   in Loop: Header=BB2_114 Depth=3
	s_or_b64 exec, exec, s[54:55]
.LBB2_444:                              ;   in Loop: Header=BB2_114 Depth=3
	s_or_b64 exec, exec, s[20:21]
.LBB2_445:                              ;   in Loop: Header=BB2_114 Depth=3
	s_or_b64 exec, exec, s[52:53]
	v_and_b32_sdwa v16, v54, s64 dst_sel:DWORD dst_unused:UNUSED_PAD src0_sel:WORD_1 src1_sel:DWORD
	v_cmp_ne_u16_e32 vcc, 0, v16
	s_and_saveexec_b64 s[20:21], vcc
	s_cbranch_execz .LBB2_453
; %bb.446:                              ;   in Loop: Header=BB2_114 Depth=3
	v_cmp_ne_u16_e32 vcc, s68, v16
	v_bfrev_b32_e32 v19, 1
	s_and_saveexec_b64 s[52:53], vcc
	s_cbranch_execz .LBB2_452
; %bb.447:                              ;   in Loop: Header=BB2_114 Depth=3
	v_and_b32_e32 v19, 0x7c0000, v54
	v_bfe_u32 v16, v54, 16, 2
	v_cmp_ne_u32_e32 vcc, s71, v19
                                        ; implicit-def: $vgpr19
	s_and_saveexec_b64 s[54:55], vcc
	s_xor_b64 s[54:55], exec, s[54:55]
	s_cbranch_execz .LBB2_449
; %bb.448:                              ;   in Loop: Header=BB2_114 Depth=3
	v_ffbh_u32_e32 v24, v16
	v_bfe_u32 v19, v54, 18, 5
	v_min_u32_e32 v24, 32, v24
	v_subrev_u32_e32 v36, 29, v24
	v_sub_u32_e32 v24, 30, v24
	v_cmp_eq_u32_e32 vcc, 0, v19
	v_lshlrev_b64 v[36:37], v36, v[2:3]
	v_cndmask_b32_e32 v19, v19, v24, vcc
	v_and_b32_e32 v36, 3, v36
	v_lshlrev_b32_e32 v2, 24, v2
	v_lshl_add_u32 v19, v19, 23, v47
	v_cndmask_b32_e32 v16, v16, v36, vcc
	v_and_or_b32 v2, v2, s67, v19
	v_lshl_or_b32 v19, v16, 21, v2
                                        ; implicit-def: $vgpr16
                                        ; implicit-def: $vgpr2
.LBB2_449:                              ;   in Loop: Header=BB2_114 Depth=3
	s_andn2_saveexec_b64 s[54:55], s[54:55]
; %bb.450:                              ;   in Loop: Header=BB2_114 Depth=3
	v_cmp_gt_i16_sdwa vcc, sext(v2), v6 src0_sel:BYTE_0 src1_sel:DWORD
	v_cndmask_b32_e32 v2, v7, v10, vcc
	v_cmp_eq_u32_e32 vcc, 0, v16
	v_cndmask_b32_e32 v19, v11, v2, vcc
; %bb.451:                              ;   in Loop: Header=BB2_114 Depth=3
	s_or_b64 exec, exec, s[54:55]
.LBB2_452:                              ;   in Loop: Header=BB2_114 Depth=3
	s_or_b64 exec, exec, s[52:53]
.LBB2_453:                              ;   in Loop: Header=BB2_114 Depth=3
	s_or_b64 exec, exec, s[20:21]
	v_max_f32_e32 v2, v19, v19
	v_max_f32_e32 v16, v17, v17
	v_min_f32_e32 v19, v16, v2
.LBB2_454:                              ;   in Loop: Header=BB2_114 Depth=3
	s_or_b64 exec, exec, s[50:51]
	v_and_b32_sdwa v2, v19, s68 dst_sel:DWORD dst_unused:UNUSED_PAD src0_sel:BYTE_3 src1_sel:DWORD
	v_and_b32_e32 v50, 0x7f800000, v19
	v_mov_b32_e32 v51, v55
	v_and_b32_e32 v16, 0x7fffff, v19
	v_mov_b32_e32 v17, v55
	v_or_b32_e32 v36, 0x7b, v2
	v_cmp_ne_u64_e32 vcc, s[40:41], v[50:51]
	s_and_saveexec_b64 s[20:21], vcc
	s_xor_b64 s[50:51], exec, s[20:21]
	s_cbranch_execz .LBB2_464
; %bb.455:                              ;   in Loop: Header=BB2_114 Depth=3
	v_and_b32_e32 v50, 0x7fffffff, v19
	v_mov_b32_e32 v51, v55
	v_cmp_gt_u64_e32 vcc, s[42:43], v[50:51]
	s_and_saveexec_b64 s[52:53], vcc
	s_cbranch_execz .LBB2_463
; %bb.456:                              ;   in Loop: Header=BB2_114 Depth=3
	v_cmp_ne_u32_e32 vcc, 0, v19
	v_mov_b32_e32 v36, 0
	s_and_saveexec_b64 s[54:55], vcc
	s_cbranch_execz .LBB2_462
; %bb.457:                              ;   in Loop: Header=BB2_114 Depth=3
	v_bfe_u32 v19, v19, 23, 8
	v_sub_u32_e32 v36, 0x71, v19
	v_cmp_gt_u32_e32 vcc, s69, v19
	v_add_u32_e32 v24, 0xffffff81, v19
	v_cndmask_b32_e32 v36, 0, v36, vcc
	v_cmp_eq_u32_e32 vcc, 0, v19
	v_cndmask_b32_e32 v19, v24, v30, vcc
	v_cndmask_b32_e32 v24, v36, v48, vcc
	v_or_b32_e32 v37, 0x800000, v16
	v_add_u32_e32 v36, 21, v24
	v_cndmask_b32_e32 v16, v37, v16, vcc
	v_lshlrev_b64 v[36:37], v36, -1
	v_not_b32_e32 v36, v36
	v_and_b32_e32 v50, v16, v36
	v_add_u32_e32 v36, 20, v24
	v_lshrrev_b64 v[16:17], v24, v[16:17]
	v_not_b32_e32 v37, v37
	v_lshlrev_b64 v[40:41], v36, 1
	v_lshrrev_b32_e32 v36, 23, v16
	v_and_b32_e32 v51, 0, v37
	v_add3_u32 v36, v24, v19, v36
	v_bfe_u32 v19, v16, 21, 1
	v_add_u32_e32 v19, -1, v19
	v_cmp_eq_u64_e32 vcc, v[50:51], v[40:41]
	v_cndmask_b32_e32 v19, 0, v19, vcc
	v_add_u32_e32 v19, v19, v16
	v_and_b32_e32 v19, 0x1fffff, v19
	v_add_co_u32_e32 v16, vcc, v19, v16
	v_add_u32_e32 v24, 14, v36
	v_addc_co_u32_e32 v17, vcc, 0, v17, vcc
	v_cmp_ne_u32_e32 vcc, 0, v24
                                        ; implicit-def: $vgpr19
	s_and_saveexec_b64 s[20:21], vcc
	s_xor_b64 s[20:21], exec, s[20:21]
; %bb.458:                              ;   in Loop: Header=BB2_114 Depth=3
	v_add_u32_e32 v19, 15, v36
	v_cmp_lt_u64_e32 vcc, s[44:45], v[16:17]
	v_cndmask_b32_e32 v19, v24, v19, vcc
	v_cndmask_b32_e64 v24, 0, 1, vcc
	v_lshrrev_b64 v[16:17], v24, v[16:17]
; %bb.459:                              ;   in Loop: Header=BB2_114 Depth=3
	s_andn2_saveexec_b64 s[20:21], s[20:21]
; %bb.460:                              ;   in Loop: Header=BB2_114 Depth=3
	v_bfe_u32 v19, v16, 23, 1
; %bb.461:                              ;   in Loop: Header=BB2_114 Depth=3
	s_or_b64 exec, exec, s[20:21]
	v_lshrrev_b64 v[16:17], 21, v[16:17]
	v_cmp_gt_i32_e32 vcc, 32, v19
	v_cndmask_b32_e32 v17, 0, v17, vcc
	v_cndmask_b32_e32 v16, 3, v16, vcc
	v_cmp_eq_u64_e64 s[20:21], 0, v[16:17]
	v_min_i32_e32 v17, 31, v19
	v_cmp_eq_u32_e32 vcc, 0, v19
	v_lshlrev_b32_e32 v17, 2, v17
	v_and_or_b32 v16, v16, 3, v17
	s_and_b64 s[20:21], vcc, s[20:21]
	v_cndmask_b32_e64 v16, v16, 0, s[20:21]
	v_or_b32_e32 v36, v16, v2
.LBB2_462:                              ;   in Loop: Header=BB2_114 Depth=3
	s_or_b64 exec, exec, s[54:55]
.LBB2_463:                              ;   in Loop: Header=BB2_114 Depth=3
	s_or_b64 exec, exec, s[52:53]
                                        ; implicit-def: $vgpr19
                                        ; implicit-def: $vgpr16_vgpr17
.LBB2_464:                              ;   in Loop: Header=BB2_114 Depth=3
	s_andn2_saveexec_b64 s[20:21], s[50:51]
; %bb.465:                              ;   in Loop: Header=BB2_114 Depth=3
	v_or_b32_sdwa v2, v19, s70 dst_sel:DWORD dst_unused:UNUSED_PAD src0_sel:BYTE_3 src1_sel:DWORD
	v_cmp_eq_u64_e32 vcc, 0, v[16:17]
	v_cndmask_b32_e32 v36, v2, v36, vcc
; %bb.466:                              ;   in Loop: Header=BB2_114 Depth=3
	s_or_b64 exec, exec, s[20:21]
	v_mov_b32_e32 v40, v55
	v_mov_b32_e32 v41, v18
	v_lshrrev_b32_e32 v24, 24, v18
	v_lshrrev_b32_e32 v2, 24, v54
	v_mov_b32_e32 v16, v55
	v_mov_b32_e32 v17, v54
	v_cmp_lt_u64_e32 vcc, s[38:39], v[40:41]
                                        ; implicit-def: $vgpr37
	s_and_saveexec_b64 s[20:21], s[14:15]
	s_xor_b64 s[50:51], exec, s[20:21]
	s_cbranch_execz .LBB2_484
; %bb.467:                              ;   in Loop: Header=BB2_114 Depth=3
	v_mov_b32_e32 v37, 0
	v_mov_b32_e32 v19, 0
	s_and_saveexec_b64 s[52:53], vcc
	s_cbranch_execz .LBB2_475
; %bb.468:                              ;   in Loop: Header=BB2_114 Depth=3
	v_cmp_ne_u32_e64 s[20:21], s68, v24
	v_bfrev_b32_e32 v19, 1
	s_and_saveexec_b64 s[54:55], s[20:21]
	s_cbranch_execz .LBB2_474
; %bb.469:                              ;   in Loop: Header=BB2_114 Depth=3
	v_and_b32_e32 v19, 0x7c000000, v18
	v_bfe_u32 v46, v18, 24, 2
	v_cmp_ne_u32_e64 s[20:21], s72, v19
                                        ; implicit-def: $vgpr19
	s_and_saveexec_b64 s[56:57], s[20:21]
	s_xor_b64 s[56:57], exec, s[56:57]
	s_cbranch_execz .LBB2_471
; %bb.470:                              ;   in Loop: Header=BB2_114 Depth=3
	v_ffbh_u32_e32 v50, v46
	v_min_u32_e32 v40, 32, v50
	v_bfe_u32 v19, v18, 26, 5
	v_subrev_u32_e32 v50, 29, v40
	v_lshlrev_b64 v[50:51], v50, v[24:25]
	v_sub_u32_e32 v24, 30, v40
	v_cmp_eq_u32_e64 s[20:21], 0, v19
	v_cndmask_b32_e64 v19, v19, v24, s[20:21]
	v_and_b32_e32 v50, 3, v50
	v_lshl_add_u32 v19, v19, 23, v47
	v_cndmask_b32_e64 v24, v46, v50, s[20:21]
	v_and_or_b32 v18, v18, s67, v19
	v_lshl_or_b32 v19, v24, 21, v18
                                        ; implicit-def: $vgpr46
                                        ; implicit-def: $vgpr40_vgpr41
.LBB2_471:                              ;   in Loop: Header=BB2_114 Depth=3
	s_andn2_saveexec_b64 s[56:57], s[56:57]
; %bb.472:                              ;   in Loop: Header=BB2_114 Depth=3
	v_cmp_lt_i64_e64 s[20:21], -1, v[40:41]
	v_cndmask_b32_e64 v18, v7, v10, s[20:21]
	v_cmp_eq_u32_e64 s[20:21], 0, v46
	v_cndmask_b32_e64 v19, v11, v18, s[20:21]
; %bb.473:                              ;   in Loop: Header=BB2_114 Depth=3
	s_or_b64 exec, exec, s[56:57]
.LBB2_474:                              ;   in Loop: Header=BB2_114 Depth=3
	s_or_b64 exec, exec, s[54:55]
.LBB2_475:                              ;   in Loop: Header=BB2_114 Depth=3
	s_or_b64 exec, exec, s[52:53]
	v_cmp_lt_u32_e64 s[20:21], s39, v54
	s_and_saveexec_b64 s[52:53], s[20:21]
	s_cbranch_execz .LBB2_483
; %bb.476:                              ;   in Loop: Header=BB2_114 Depth=3
	v_cmp_ne_u32_e64 s[20:21], s68, v2
	v_bfrev_b32_e32 v37, 1
	s_and_saveexec_b64 s[54:55], s[20:21]
	s_cbranch_execz .LBB2_482
; %bb.477:                              ;   in Loop: Header=BB2_114 Depth=3
	v_and_b32_e32 v24, 0x7c000000, v54
	v_bfe_u32 v18, v54, 24, 2
	v_cmp_ne_u32_e64 s[20:21], s72, v24
                                        ; implicit-def: $vgpr37
	s_and_saveexec_b64 s[56:57], s[20:21]
	s_xor_b64 s[56:57], exec, s[56:57]
	s_cbranch_execz .LBB2_479
; %bb.478:                              ;   in Loop: Header=BB2_114 Depth=3
	v_ffbh_u32_e32 v16, v18
	v_min_u32_e32 v37, 32, v16
	v_bfe_u32 v24, v54, 26, 5
	v_subrev_u32_e32 v16, 29, v37
	v_lshlrev_b64 v[16:17], v16, v[2:3]
	v_sub_u32_e32 v2, 30, v37
	v_cmp_eq_u32_e64 s[20:21], 0, v24
	v_cndmask_b32_e64 v2, v24, v2, s[20:21]
	v_and_b32_e32 v16, 3, v16
	v_lshl_add_u32 v2, v2, 23, v47
	v_cndmask_b32_e64 v16, v18, v16, s[20:21]
	v_and_or_b32 v2, v54, s67, v2
	v_lshl_or_b32 v37, v16, 21, v2
                                        ; implicit-def: $vgpr18
                                        ; implicit-def: $vgpr16_vgpr17
.LBB2_479:                              ;   in Loop: Header=BB2_114 Depth=3
	s_andn2_saveexec_b64 s[56:57], s[56:57]
; %bb.480:                              ;   in Loop: Header=BB2_114 Depth=3
	v_cmp_lt_i64_e64 s[20:21], -1, v[16:17]
	v_cndmask_b32_e64 v2, v7, v10, s[20:21]
	v_cmp_eq_u32_e64 s[20:21], 0, v18
	v_cndmask_b32_e64 v37, v11, v2, s[20:21]
; %bb.481:                              ;   in Loop: Header=BB2_114 Depth=3
	s_or_b64 exec, exec, s[56:57]
.LBB2_482:                              ;   in Loop: Header=BB2_114 Depth=3
	s_or_b64 exec, exec, s[54:55]
.LBB2_483:                              ;   in Loop: Header=BB2_114 Depth=3
	s_or_b64 exec, exec, s[52:53]
	v_max_f32_e32 v2, v37, v37
	v_max_f32_e32 v16, v19, v19
	;; [unrolled: 1-line block ×3, first 2 shown]
                                        ; implicit-def: $vgpr2
                                        ; implicit-def: $vgpr24
                                        ; implicit-def: $vgpr16_vgpr17
                                        ; implicit-def: $vgpr40_vgpr41
                                        ; implicit-def: $vgpr18_vgpr19
.LBB2_484:                              ;   in Loop: Header=BB2_114 Depth=3
	s_andn2_saveexec_b64 s[20:21], s[50:51]
	s_cbranch_execz .LBB2_502
; %bb.485:                              ;   in Loop: Header=BB2_114 Depth=3
	v_mov_b32_e32 v37, 0
	v_mov_b32_e32 v19, 0
	s_and_saveexec_b64 s[50:51], vcc
	s_cbranch_execz .LBB2_493
; %bb.486:                              ;   in Loop: Header=BB2_114 Depth=3
	v_cmp_ne_u32_e32 vcc, s68, v24
	v_bfrev_b32_e32 v19, 1
	s_and_saveexec_b64 s[52:53], vcc
	s_cbranch_execz .LBB2_492
; %bb.487:                              ;   in Loop: Header=BB2_114 Depth=3
	v_and_b32_e32 v19, 0x7c000000, v18
	v_bfe_u32 v46, v18, 24, 2
	v_cmp_ne_u32_e32 vcc, s72, v19
                                        ; implicit-def: $vgpr19
	s_and_saveexec_b64 s[54:55], vcc
	s_xor_b64 s[54:55], exec, s[54:55]
	s_cbranch_execz .LBB2_489
; %bb.488:                              ;   in Loop: Header=BB2_114 Depth=3
	v_ffbh_u32_e32 v50, v46
	v_min_u32_e32 v40, 32, v50
	v_bfe_u32 v19, v18, 26, 5
	v_subrev_u32_e32 v50, 29, v40
	v_lshlrev_b64 v[50:51], v50, v[24:25]
	v_sub_u32_e32 v24, 30, v40
	v_cmp_eq_u32_e32 vcc, 0, v19
	v_cndmask_b32_e32 v19, v19, v24, vcc
	v_and_b32_e32 v50, 3, v50
	v_lshl_add_u32 v19, v19, 23, v47
	v_cndmask_b32_e32 v24, v46, v50, vcc
	v_and_or_b32 v18, v18, s67, v19
	v_lshl_or_b32 v19, v24, 21, v18
                                        ; implicit-def: $vgpr46
                                        ; implicit-def: $vgpr40_vgpr41
.LBB2_489:                              ;   in Loop: Header=BB2_114 Depth=3
	s_andn2_saveexec_b64 s[54:55], s[54:55]
; %bb.490:                              ;   in Loop: Header=BB2_114 Depth=3
	v_cmp_lt_i64_e32 vcc, -1, v[40:41]
	v_cndmask_b32_e32 v18, v7, v10, vcc
	v_cmp_eq_u32_e32 vcc, 0, v46
	v_cndmask_b32_e32 v19, v11, v18, vcc
; %bb.491:                              ;   in Loop: Header=BB2_114 Depth=3
	s_or_b64 exec, exec, s[54:55]
.LBB2_492:                              ;   in Loop: Header=BB2_114 Depth=3
	s_or_b64 exec, exec, s[52:53]
.LBB2_493:                              ;   in Loop: Header=BB2_114 Depth=3
	s_or_b64 exec, exec, s[50:51]
	v_cmp_lt_u32_e32 vcc, s39, v54
	s_and_saveexec_b64 s[50:51], vcc
	s_cbranch_execz .LBB2_501
; %bb.494:                              ;   in Loop: Header=BB2_114 Depth=3
	v_cmp_ne_u32_e32 vcc, s68, v2
	v_bfrev_b32_e32 v37, 1
	s_and_saveexec_b64 s[52:53], vcc
	s_cbranch_execz .LBB2_500
; %bb.495:                              ;   in Loop: Header=BB2_114 Depth=3
	v_and_b32_e32 v24, 0x7c000000, v54
	v_bfe_u32 v18, v54, 24, 2
	v_cmp_ne_u32_e32 vcc, s72, v24
                                        ; implicit-def: $vgpr37
	s_and_saveexec_b64 s[54:55], vcc
	s_xor_b64 s[54:55], exec, s[54:55]
	s_cbranch_execz .LBB2_497
; %bb.496:                              ;   in Loop: Header=BB2_114 Depth=3
	v_ffbh_u32_e32 v16, v18
	v_min_u32_e32 v37, 32, v16
	v_bfe_u32 v24, v54, 26, 5
	v_subrev_u32_e32 v16, 29, v37
	v_lshlrev_b64 v[16:17], v16, v[2:3]
	v_sub_u32_e32 v2, 30, v37
	v_cmp_eq_u32_e32 vcc, 0, v24
	v_cndmask_b32_e32 v2, v24, v2, vcc
	v_and_b32_e32 v16, 3, v16
	v_lshl_add_u32 v2, v2, 23, v47
	v_cndmask_b32_e32 v16, v18, v16, vcc
	v_and_or_b32 v2, v54, s67, v2
	v_lshl_or_b32 v37, v16, 21, v2
                                        ; implicit-def: $vgpr18
                                        ; implicit-def: $vgpr16_vgpr17
.LBB2_497:                              ;   in Loop: Header=BB2_114 Depth=3
	s_andn2_saveexec_b64 s[54:55], s[54:55]
; %bb.498:                              ;   in Loop: Header=BB2_114 Depth=3
	v_cmp_lt_i64_e32 vcc, -1, v[16:17]
	v_cndmask_b32_e32 v2, v7, v10, vcc
	v_cmp_eq_u32_e32 vcc, 0, v18
	v_cndmask_b32_e32 v37, v11, v2, vcc
; %bb.499:                              ;   in Loop: Header=BB2_114 Depth=3
	s_or_b64 exec, exec, s[54:55]
.LBB2_500:                              ;   in Loop: Header=BB2_114 Depth=3
	s_or_b64 exec, exec, s[52:53]
.LBB2_501:                              ;   in Loop: Header=BB2_114 Depth=3
	s_or_b64 exec, exec, s[50:51]
	v_max_f32_e32 v2, v37, v37
	v_max_f32_e32 v16, v19, v19
	v_min_f32_e32 v37, v16, v2
.LBB2_502:                              ;   in Loop: Header=BB2_114 Depth=3
	s_or_b64 exec, exec, s[20:21]
	v_and_b32_sdwa v2, v37, s68 dst_sel:DWORD dst_unused:UNUSED_PAD src0_sel:BYTE_3 src1_sel:DWORD
	v_and_b32_e32 v18, 0x7f800000, v37
	v_mov_b32_e32 v19, v55
	v_and_b32_e32 v54, 0x7fffff, v37
	v_or_b32_e32 v16, 0x7b, v2
	v_cmp_ne_u64_e32 vcc, s[40:41], v[18:19]
	s_and_saveexec_b64 s[20:21], vcc
	s_xor_b64 s[50:51], exec, s[20:21]
	s_cbranch_execz .LBB2_512
; %bb.503:                              ;   in Loop: Header=BB2_114 Depth=3
	v_and_b32_e32 v18, 0x7fffffff, v37
	v_mov_b32_e32 v19, v55
	v_cmp_gt_u64_e32 vcc, s[42:43], v[18:19]
	s_and_saveexec_b64 s[52:53], vcc
	s_cbranch_execz .LBB2_511
; %bb.504:                              ;   in Loop: Header=BB2_114 Depth=3
	v_cmp_ne_u32_e32 vcc, 0, v37
	v_mov_b32_e32 v16, 0
	s_and_saveexec_b64 s[54:55], vcc
	s_cbranch_execz .LBB2_510
; %bb.505:                              ;   in Loop: Header=BB2_114 Depth=3
	v_bfe_u32 v16, v37, 23, 8
	v_sub_u32_e32 v18, 0x71, v16
	v_cmp_gt_u32_e32 vcc, s69, v16
	v_cndmask_b32_e32 v18, 0, v18, vcc
	v_cmp_eq_u32_e32 vcc, 0, v16
	v_or_b32_e32 v19, 0x800000, v54
	v_cndmask_b32_e32 v18, v18, v48, vcc
	v_add_u32_e32 v17, 0xffffff81, v16
	v_cndmask_b32_e32 v54, v19, v54, vcc
	v_add_u32_e32 v16, 21, v18
	v_cndmask_b32_e32 v24, v17, v30, vcc
	v_lshlrev_b64 v[16:17], v16, -1
	v_add_u32_e32 v19, 20, v18
	v_lshrrev_b64 v[40:41], v18, v[54:55]
	v_not_b32_e32 v17, v17
	v_not_b32_e32 v16, v16
	v_lshlrev_b64 v[50:51], v19, 1
	v_lshrrev_b32_e32 v19, 23, v40
	v_and_b32_e32 v17, 0, v17
	v_and_b32_e32 v16, v54, v16
	v_add3_u32 v24, v18, v24, v19
	v_bfe_u32 v18, v40, 21, 1
	v_add_u32_e32 v18, -1, v18
	v_cmp_eq_u64_e32 vcc, v[16:17], v[50:51]
	v_cndmask_b32_e32 v16, 0, v18, vcc
	v_add_u32_e32 v16, v16, v40
	v_and_b32_e32 v16, 0x1fffff, v16
	v_add_co_u32_e32 v16, vcc, v16, v40
	v_add_u32_e32 v19, 14, v24
	v_addc_co_u32_e32 v17, vcc, 0, v41, vcc
	v_cmp_ne_u32_e32 vcc, 0, v19
                                        ; implicit-def: $vgpr18
	s_and_saveexec_b64 s[20:21], vcc
	s_xor_b64 s[20:21], exec, s[20:21]
; %bb.506:                              ;   in Loop: Header=BB2_114 Depth=3
	v_add_u32_e32 v18, 15, v24
	v_cmp_lt_u64_e32 vcc, s[44:45], v[16:17]
	v_cndmask_b32_e32 v18, v19, v18, vcc
	v_cndmask_b32_e64 v19, 0, 1, vcc
	v_lshrrev_b64 v[16:17], v19, v[16:17]
; %bb.507:                              ;   in Loop: Header=BB2_114 Depth=3
	s_andn2_saveexec_b64 s[20:21], s[20:21]
; %bb.508:                              ;   in Loop: Header=BB2_114 Depth=3
	v_bfe_u32 v18, v16, 23, 1
; %bb.509:                              ;   in Loop: Header=BB2_114 Depth=3
	s_or_b64 exec, exec, s[20:21]
	v_lshrrev_b64 v[16:17], 21, v[16:17]
	v_cmp_gt_i32_e32 vcc, 32, v18
	v_cndmask_b32_e32 v17, 0, v17, vcc
	v_cndmask_b32_e32 v16, 3, v16, vcc
	v_cmp_eq_u64_e64 s[20:21], 0, v[16:17]
	v_min_i32_e32 v17, 31, v18
	v_lshlrev_b32_e32 v17, 2, v17
	v_cmp_eq_u32_e32 vcc, 0, v18
	v_and_b32_e32 v17, 0xfc, v17
	v_and_or_b32 v16, v16, 3, v17
	s_and_b64 s[20:21], vcc, s[20:21]
	v_cndmask_b32_e64 v16, v16, 0, s[20:21]
	v_or_b32_e32 v16, v16, v2
.LBB2_510:                              ;   in Loop: Header=BB2_114 Depth=3
	s_or_b64 exec, exec, s[54:55]
.LBB2_511:                              ;   in Loop: Header=BB2_114 Depth=3
	s_or_b64 exec, exec, s[52:53]
                                        ; implicit-def: $vgpr37
.LBB2_512:                              ;   in Loop: Header=BB2_114 Depth=3
	s_andn2_saveexec_b64 s[20:21], s[50:51]
	s_cbranch_execz .LBB2_113
; %bb.513:                              ;   in Loop: Header=BB2_114 Depth=3
	v_or_b32_sdwa v2, v37, s70 dst_sel:DWORD dst_unused:UNUSED_PAD src0_sel:BYTE_3 src1_sel:DWORD
	v_cmp_eq_u64_e32 vcc, 0, v[54:55]
	v_cndmask_b32_e32 v16, v2, v16, vcc
	s_branch .LBB2_113
.LBB2_514:                              ;   in Loop: Header=BB2_70 Depth=2
	s_or_b64 exec, exec, s[48:49]
	v_accvgpr_read_b32 v61, a7
	v_accvgpr_read_b32 v33, a11
	;; [unrolled: 1-line block ×6, first 2 shown]
	s_or_b64 exec, exec, s[46:47]
	s_and_saveexec_b64 s[20:21], s[10:11]
	s_cbranch_execz .LBB2_74
.LBB2_515:                              ;   in Loop: Header=BB2_70 Depth=2
	s_and_saveexec_b64 vcc, s[30:31]
	s_xor_b64 s[46:47], exec, vcc
	s_cbranch_execz .LBB2_530
; %bb.516:                              ;   in Loop: Header=BB2_70 Depth=2
	s_and_saveexec_b64 s[48:49], s[12:13]
	s_cbranch_execz .LBB2_529
; %bb.517:                              ;   in Loop: Header=BB2_70 Depth=2
	s_mov_b64 s[52:53], exec
	v_mbcnt_lo_u32_b32 v1, s52, 0
	v_mbcnt_hi_u32_b32 v1, s53, v1
	v_cmp_eq_u32_e32 vcc, 0, v1
	s_waitcnt vmcnt(0) lgkmcnt(0)
	buffer_wbinvl1_vol
	s_and_saveexec_b64 s[50:51], vcc
	s_cbranch_execz .LBB2_519
; %bb.518:                              ;   in Loop: Header=BB2_70 Depth=2
	s_bcnt1_i32_b64 vcc_lo, s[52:53]
	v_mov_b32_e32 v54, vcc_lo
	ds_add_u64 v0, v[54:55]
	s_trap 2
.LBB2_519:                              ;   in Loop: Header=BB2_70 Depth=2
	s_or_b64 exec, exec, s[50:51]
	s_trap 2
	ds_read_b64 v[2:3], v0
	v_accvgpr_read_b32 v4, a30
	v_add_co_u32_e32 v42, vcc, v42, v4
	v_accvgpr_read_b32 v1, a41
	v_addc_co_u32_e32 v43, vcc, v43, v1, vcc
	s_waitcnt lgkmcnt(0)
	v_cmp_lt_u64_e32 vcc, v[2:3], v[42:43]
	s_and_saveexec_b64 s[50:51], vcc
	s_cbranch_execz .LBB2_528
; %bb.520:                              ;   in Loop: Header=BB2_70 Depth=2
	s_mov_b32 s79, 0
	s_mov_b64 s[52:53], 0
                                        ; implicit-def: $sgpr54_sgpr55
                                        ; implicit-def: $sgpr56_sgpr57
	s_branch .LBB2_522
.LBB2_521:                              ;   in Loop: Header=BB2_522 Depth=3
	s_or_b64 exec, exec, s[60:61]
	s_and_b64 vcc, exec, vcc
	s_or_b64 s[52:53], vcc, s[52:53]
	s_andn2_b64 vcc, s[54:55], exec
	s_and_b64 s[54:55], s[56:57], exec
	s_or_b64 s[54:55], vcc, s[54:55]
	s_andn2_b64 exec, exec, s[52:53]
	s_cbranch_execz .LBB2_526
.LBB2_522:                              ;   Parent Loop BB2_21 Depth=1
                                        ;     Parent Loop BB2_70 Depth=2
                                        ; =>    This Inner Loop Header: Depth=3
	s_add_i32 s79, s79, 1
	s_cmpk_lg_i32 s79, 0x2710
	s_cselect_b64 s[58:59], -1, 0
	s_and_b64 vcc, exec, s[58:59]
                                        ; implicit-def: $sgpr60_sgpr61
	s_cbranch_vccnz .LBB2_524
; %bb.523:                              ;   in Loop: Header=BB2_522 Depth=3
	s_trap 2
	ds_read_b64 v[2:3], v0
	s_andn2_b64 s[58:59], s[58:59], exec
	s_mov_b32 s79, 0
	s_mov_b64 s[60:61], -1
	s_waitcnt lgkmcnt(0)
	flat_load_dword v1, v[2:3] glc
	s_waitcnt vmcnt(0) lgkmcnt(0)
	buffer_invl2
	buffer_wbinvl1_vol
	v_cmp_eq_u32_e32 vcc, 0, v1
	s_and_b64 vcc, vcc, exec
	s_or_b64 s[58:59], s[58:59], vcc
.LBB2_524:                              ;   in Loop: Header=BB2_522 Depth=3
	s_andn2_b64 s[56:57], s[56:57], exec
	s_and_b64 s[60:61], s[60:61], exec
	s_mov_b64 vcc, -1
	s_or_b64 s[56:57], s[56:57], s[60:61]
	s_and_saveexec_b64 s[60:61], s[58:59]
	s_cbranch_execz .LBB2_521
; %bb.525:                              ;   in Loop: Header=BB2_522 Depth=3
	s_sleep 1
	s_trap 2
	ds_read_b64 v[2:3], v0
	s_andn2_b64 s[56:57], s[56:57], exec
	s_waitcnt lgkmcnt(0)
	v_cmp_ge_u64_e32 vcc, v[2:3], v[42:43]
	s_orn2_b64 vcc, vcc, exec
	s_branch .LBB2_521
.LBB2_526:                              ;   in Loop: Header=BB2_70 Depth=2
	s_or_b64 exec, exec, s[52:53]
	s_and_saveexec_b64 vcc, s[54:55]
	s_xor_b64 vcc, exec, vcc
	s_cbranch_execz .LBB2_528
; %bb.527:                              ;   in Loop: Header=BB2_70 Depth=2
	v_mov_b32_e32 v1, 1
	ds_write_b32 v0, v1
	s_trap 2
.LBB2_528:                              ;   in Loop: Header=BB2_70 Depth=2
	s_or_b64 exec, exec, s[50:51]
	;;#ASMSTART
	s_wakeup
	;;#ASMEND
.LBB2_529:                              ;   in Loop: Header=BB2_70 Depth=2
	s_or_b64 exec, exec, s[48:49]
.LBB2_530:                              ;   in Loop: Header=BB2_70 Depth=2
	s_andn2_saveexec_b64 vcc, s[46:47]
	s_cbranch_execz .LBB2_532
; %bb.531:                              ;   in Loop: Header=BB2_70 Depth=2
	s_waitcnt vmcnt(0) lgkmcnt(0)
	buffer_wbinvl1_vol
	s_barrier
.LBB2_532:                              ;   in Loop: Header=BB2_70 Depth=2
	s_or_b64 exec, exec, vcc
	s_or_b64 exec, exec, s[20:21]
	s_and_saveexec_b64 s[20:21], s[16:17]
	s_cbranch_execnz .LBB2_75
	s_branch .LBB2_76
.LBB2_533:                              ;   in Loop: Header=BB2_21 Depth=1
	v_accvgpr_write_b32 a46, v1
	v_accvgpr_write_b32 a45, v2
	v_pk_mov_b32 v[16:17], v[28:29], v[28:29] op_sel:[0,1]
	s_branch .LBB2_535
.LBB2_534:                              ;   in Loop: Header=BB2_21 Depth=1
	v_pk_mov_b32 v[16:17], v[28:29], v[28:29] op_sel:[0,1]
	v_accvgpr_read_b32 v31, a38
.LBB2_535:                              ;   in Loop: Header=BB2_21 Depth=1
	v_accvgpr_read_b32 v1, a45
	v_accvgpr_read_b32 v4, a46
; %bb.536:                              ;   in Loop: Header=BB2_21 Depth=1
	s_and_saveexec_b64 s[20:21], s[18:19]
	s_cbranch_execz .LBB2_958
; %bb.537:                              ;   in Loop: Header=BB2_21 Depth=1
	flat_load_dword v8, v[60:61]
	s_waitcnt vmcnt(0) lgkmcnt(0)
	v_accvgpr_read_b32 v2, a12
	v_accvgpr_read_b32 v3, a13
	v_add_co_u32_e32 v2, vcc, v2, v1
	v_addc_co_u32_e32 v3, vcc, v3, v4, vcc
	v_accvgpr_read_b32 v0, a34
	v_add_co_u32_e32 v0, vcc, v0, v1
	v_accvgpr_read_b32 v1, a35
	v_addc_co_u32_e32 v1, vcc, v1, v4, vcc
	v_and_b32_e32 v4, 7, v34
	v_mul_lo_u32 v4, v4, s62
	v_ashrrev_i32_e32 v5, 31, v4
	v_lshlrev_b64 v[4:5], 4, v[4:5]
	v_accvgpr_read_b32 v18, a18
	v_accvgpr_read_b32 v19, a19
	v_add_co_u32_e32 v44, vcc, v18, v4
	v_addc_co_u32_e32 v45, vcc, v19, v5, vcc
	v_accvgpr_read_b32 v5, a26
	v_accvgpr_read_b32 v9, a3
	v_add_u32_e32 v31, 1, v34
	s_mov_b64 s[46:47], 0
	v_accvgpr_read_b32 v26, a2
	v_ashrrev_i32_e32 v4, 31, v8
	v_mul_lo_u32 v5, v5, v8
	v_mad_u64_u32 v[2:3], s[18:19], v9, v8, v[2:3]
	v_mul_lo_u32 v4, v9, v4
	v_add3_u32 v3, v5, v3, v4
	v_accvgpr_read_b32 v4, a32
	v_add_co_u32_e32 v18, vcc, v2, v4
	v_accvgpr_read_b32 v5, a27
	v_addc_co_u32_e32 v19, vcc, v3, v5, vcc
	s_branch .LBB2_539
.LBB2_538:                              ;   in Loop: Header=BB2_539 Depth=2
	v_add_co_u32_e32 v18, vcc, v18, v56
	v_addc_co_u32_e32 v19, vcc, v19, v57, vcc
	v_add_co_u32_e32 v0, vcc, v0, v56
	v_addc_co_u32_e32 v1, vcc, v1, v57, vcc
	v_sub_u32_e32 v62, v62, v56
	v_cmp_gt_i32_e32 vcc, 1, v62
	s_or_b64 s[46:47], vcc, s[46:47]
	v_add_u32_e32 v26, v26, v20
	s_andn2_b64 exec, exec, s[46:47]
	s_cbranch_execz .LBB2_957
.LBB2_539:                              ;   Parent Loop BB2_21 Depth=1
                                        ; =>  This Loop Header: Depth=2
                                        ;       Child Loop BB2_547 Depth 3
	v_and_b32_e32 v2, -4, v18
	v_mov_b32_e32 v3, v19
	global_load_dword v8, v[2:3], off glc slc
	v_min_u32_e32 v4, 8, v62
	v_and_b32_e32 v5, 3, v18
	v_add_co_u32_e32 v4, vcc, v5, v4
	v_addc_co_u32_e64 v5, s[18:19], 0, 0, vcc
	v_mov_b32_e32 v32, 0
	v_cmp_lt_u64_e32 vcc, 4, v[4:5]
	v_mov_b32_e32 v33, 0
	s_and_saveexec_b64 s[18:19], vcc
	s_cbranch_execz .LBB2_541
; %bb.540:                              ;   in Loop: Header=BB2_539 Depth=2
	global_load_dword v33, v[2:3], off offset:4 glc slc
.LBB2_541:                              ;   in Loop: Header=BB2_539 Depth=2
	s_or_b64 exec, exec, s[18:19]
	v_cmp_lt_u64_e32 vcc, 8, v[4:5]
	s_and_saveexec_b64 s[18:19], vcc
	s_cbranch_execz .LBB2_543
; %bb.542:                              ;   in Loop: Header=BB2_539 Depth=2
	global_load_dword v32, v[2:3], off offset:8 glc slc
.LBB2_543:                              ;   in Loop: Header=BB2_539 Depth=2
	s_or_b64 exec, exec, s[18:19]
	v_ashrrev_i32_e32 v27, 31, v26
	v_lshlrev_b64 v[2:3], 4, v[26:27]
	v_add_co_u32_e32 v28, vcc, v44, v2
	v_addc_co_u32_e32 v29, vcc, v45, v3, vcc
	global_load_dwordx4 v[2:5], v[28:29], off glc slc
	v_cmp_eq_u32_e32 vcc, 0, v49
	s_and_saveexec_b64 s[48:49], vcc
	s_cbranch_execz .LBB2_555
; %bb.544:                              ;   in Loop: Header=BB2_539 Depth=2
	s_waitcnt vmcnt(0)
	v_cmp_ne_u32_e32 vcc, v31, v3
	v_cmp_ne_u32_e64 s[18:19], v31, v5
	s_or_b64 s[18:19], vcc, s[18:19]
	v_mov_b32_e32 v49, 0
	s_and_saveexec_b64 s[50:51], s[18:19]
	s_cbranch_execz .LBB2_554
; %bb.545:                              ;   in Loop: Header=BB2_539 Depth=2
	s_mov_b32 s56, 1
	s_mov_b64 s[52:53], 0
	v_mov_b32_e32 v49, 0
	s_branch .LBB2_547
.LBB2_546:                              ;   in Loop: Header=BB2_547 Depth=3
	s_or_b64 exec, exec, s[54:55]
	s_and_b64 s[18:19], exec, s[18:19]
	s_or_b64 s[52:53], s[18:19], s[52:53]
	s_andn2_b64 exec, exec, s[52:53]
	s_cbranch_execz .LBB2_553
.LBB2_547:                              ;   Parent Loop BB2_21 Depth=1
                                        ;     Parent Loop BB2_539 Depth=2
                                        ; =>    This Inner Loop Header: Depth=3
	global_load_dwordx4 v[2:5], v[28:29], off glc slc
	s_add_i32 s56, s56, 1
	s_cmpk_lg_i32 s56, 0x2710
	s_cbranch_scc1 .LBB2_551
; %bb.548:                              ;   in Loop: Header=BB2_547 Depth=3
	s_trap 2
	ds_read_b64 v[22:23], v0
	s_waitcnt vmcnt(0) lgkmcnt(0)
	flat_load_dword v9, v[22:23] glc
	s_waitcnt vmcnt(0) lgkmcnt(0)
	buffer_invl2
	buffer_wbinvl1_vol
	v_cmp_ne_u32_e32 vcc, 0, v9
	s_and_saveexec_b64 s[18:19], vcc
	s_cbranch_execz .LBB2_550
; %bb.549:                              ;   in Loop: Header=BB2_547 Depth=3
	v_mov_b32_e32 v49, 1
	ds_write_b32 v0, v9
	s_trap 2
.LBB2_550:                              ;   in Loop: Header=BB2_547 Depth=3
	s_or_b64 exec, exec, s[18:19]
	s_mov_b32 s56, 0
	v_mov_b32_e32 v9, v49
	v_cmp_eq_u32_e32 vcc, 0, v9
	s_mov_b64 s[18:19], -1
	s_and_saveexec_b64 s[54:55], vcc
	s_cbranch_execz .LBB2_546
	s_branch .LBB2_552
.LBB2_551:                              ;   in Loop: Header=BB2_547 Depth=3
	v_mov_b32_e32 v9, 0
	v_cmp_eq_u32_e32 vcc, 0, v9
	s_mov_b64 s[18:19], -1
	s_and_saveexec_b64 s[54:55], vcc
	s_cbranch_execz .LBB2_546
.LBB2_552:                              ;   in Loop: Header=BB2_547 Depth=3
	s_waitcnt vmcnt(0)
	v_cmp_eq_u32_e32 vcc, v31, v3
	v_cmp_eq_u32_e64 s[18:19], v31, v5
	s_and_b64 s[18:19], vcc, s[18:19]
	s_orn2_b64 s[18:19], s[18:19], exec
	s_branch .LBB2_546
.LBB2_553:                              ;   in Loop: Header=BB2_539 Depth=2
	s_or_b64 exec, exec, s[52:53]
.LBB2_554:                              ;   in Loop: Header=BB2_539 Depth=2
	s_or_b64 exec, exec, s[50:51]
.LBB2_555:                              ;   in Loop: Header=BB2_539 Depth=2
	s_or_b64 exec, exec, s[48:49]
	v_lshlrev_b32_e32 v22, 3, v18
	s_waitcnt vmcnt(0)
	v_alignbit_b32 v54, v33, v8, v22
	s_waitcnt vmcnt(0)
	v_cmp_ne_u16_sdwa s[18:19], v2, v55 src0_sel:BYTE_0 src1_sel:DWORD
                                        ; implicit-def: $vgpr9
	s_and_saveexec_b64 vcc, s[14:15]
	s_xor_b64 s[48:49], exec, vcc
	s_cbranch_execz .LBB2_573
; %bb.556:                              ;   in Loop: Header=BB2_539 Depth=2
	v_mov_b32_e32 v9, 0
	v_mov_b32_e32 v8, 0
	s_and_saveexec_b64 s[50:51], s[18:19]
	s_cbranch_execz .LBB2_564
; %bb.557:                              ;   in Loop: Header=BB2_539 Depth=2
	v_cmp_ne_u16_sdwa vcc, sext(v2), s65 src0_sel:BYTE_0 src1_sel:DWORD
	v_bfrev_b32_e32 v8, 1
	s_and_saveexec_b64 s[52:53], vcc
	s_cbranch_execz .LBB2_563
; %bb.558:                              ;   in Loop: Header=BB2_539 Depth=2
	v_and_b32_e32 v8, 0x7c, v2
	v_and_b32_e32 v21, 3, v2
	v_cmp_ne_u32_e32 vcc, s66, v8
                                        ; implicit-def: $vgpr8
	s_and_saveexec_b64 s[54:55], vcc
	s_xor_b64 s[54:55], exec, s[54:55]
	s_cbranch_execz .LBB2_560
; %bb.559:                              ;   in Loop: Header=BB2_539 Depth=2
	v_ffbh_u32_e32 v23, v21
	v_bfe_u32 v8, v2, 2, 5
	v_min_u32_e32 v23, 32, v23
	v_subrev_u32_e32 v24, 29, v23
	v_sub_u32_e32 v23, 30, v23
	v_cmp_eq_u32_e32 vcc, 0, v8
	v_lshlrev_b64 v[24:25], v24, v[2:3]
	v_cndmask_b32_e32 v8, v8, v23, vcc
	v_and_b32_e32 v24, 3, v24
	v_lshlrev_b32_e32 v23, 24, v2
	v_lshl_add_u32 v8, v8, 23, v47
	v_cndmask_b32_e32 v21, v21, v24, vcc
	v_and_or_b32 v8, v23, s67, v8
	v_lshl_or_b32 v8, v21, 21, v8
                                        ; implicit-def: $vgpr21
.LBB2_560:                              ;   in Loop: Header=BB2_539 Depth=2
	s_andn2_saveexec_b64 s[54:55], s[54:55]
; %bb.561:                              ;   in Loop: Header=BB2_539 Depth=2
	v_cmp_gt_i16_sdwa vcc, sext(v2), v6 src0_sel:BYTE_0 src1_sel:DWORD
	v_cndmask_b32_e32 v8, v7, v10, vcc
	v_cmp_eq_u32_e32 vcc, 0, v21
	v_cndmask_b32_e32 v8, v11, v8, vcc
; %bb.562:                              ;   in Loop: Header=BB2_539 Depth=2
	s_or_b64 exec, exec, s[54:55]
.LBB2_563:                              ;   in Loop: Header=BB2_539 Depth=2
	s_or_b64 exec, exec, s[52:53]
.LBB2_564:                              ;   in Loop: Header=BB2_539 Depth=2
	s_or_b64 exec, exec, s[50:51]
	v_cmp_ne_u16_sdwa vcc, sext(v54), v55 src0_sel:BYTE_0 src1_sel:DWORD
	s_and_saveexec_b64 s[50:51], vcc
	s_cbranch_execz .LBB2_572
; %bb.565:                              ;   in Loop: Header=BB2_539 Depth=2
	v_cmp_ne_u16_sdwa vcc, sext(v54), s65 src0_sel:BYTE_0 src1_sel:DWORD
	v_bfrev_b32_e32 v9, 1
	s_and_saveexec_b64 s[52:53], vcc
	s_cbranch_execz .LBB2_571
; %bb.566:                              ;   in Loop: Header=BB2_539 Depth=2
	v_and_b32_e32 v9, 0x7c, v54
	v_and_b32_e32 v21, 3, v54
	v_cmp_ne_u32_e32 vcc, s66, v9
                                        ; implicit-def: $vgpr9
	s_and_saveexec_b64 s[54:55], vcc
	s_xor_b64 s[54:55], exec, s[54:55]
	s_cbranch_execz .LBB2_568
; %bb.567:                              ;   in Loop: Header=BB2_539 Depth=2
	v_ffbh_u32_e32 v23, v21
	v_bfe_u32 v9, v54, 2, 5
	v_min_u32_e32 v23, 32, v23
	v_subrev_u32_e32 v24, 29, v23
	v_sub_u32_e32 v23, 30, v23
	v_cmp_eq_u32_e32 vcc, 0, v9
	v_lshlrev_b64 v[24:25], v24, v[54:55]
	v_cndmask_b32_e32 v9, v9, v23, vcc
	v_and_b32_e32 v24, 3, v24
	v_lshlrev_b32_e32 v23, 24, v54
	v_lshl_add_u32 v9, v9, 23, v47
	v_cndmask_b32_e32 v21, v21, v24, vcc
	v_and_or_b32 v9, v23, s67, v9
	v_lshl_or_b32 v9, v21, 21, v9
                                        ; implicit-def: $vgpr21
.LBB2_568:                              ;   in Loop: Header=BB2_539 Depth=2
	s_andn2_saveexec_b64 s[54:55], s[54:55]
; %bb.569:                              ;   in Loop: Header=BB2_539 Depth=2
	v_cmp_gt_i16_sdwa vcc, sext(v54), v6 src0_sel:BYTE_0 src1_sel:DWORD
	v_cndmask_b32_e32 v9, v7, v10, vcc
	v_cmp_eq_u32_e32 vcc, 0, v21
	v_cndmask_b32_e32 v9, v11, v9, vcc
; %bb.570:                              ;   in Loop: Header=BB2_539 Depth=2
	s_or_b64 exec, exec, s[54:55]
.LBB2_571:                              ;   in Loop: Header=BB2_539 Depth=2
	s_or_b64 exec, exec, s[52:53]
.LBB2_572:                              ;   in Loop: Header=BB2_539 Depth=2
	s_or_b64 exec, exec, s[50:51]
	v_max_f32_e32 v9, v9, v9
	v_max_f32_e32 v8, v8, v8
	;; [unrolled: 1-line block ×3, first 2 shown]
.LBB2_573:                              ;   in Loop: Header=BB2_539 Depth=2
	s_andn2_saveexec_b64 s[48:49], s[48:49]
	s_cbranch_execz .LBB2_591
; %bb.574:                              ;   in Loop: Header=BB2_539 Depth=2
	v_mov_b32_e32 v9, 0
	v_mov_b32_e32 v8, 0
	s_and_saveexec_b64 s[50:51], s[18:19]
	s_cbranch_execz .LBB2_582
; %bb.575:                              ;   in Loop: Header=BB2_539 Depth=2
	v_cmp_ne_u16_sdwa vcc, sext(v2), s65 src0_sel:BYTE_0 src1_sel:DWORD
	v_bfrev_b32_e32 v8, 1
	s_and_saveexec_b64 s[18:19], vcc
	s_cbranch_execz .LBB2_581
; %bb.576:                              ;   in Loop: Header=BB2_539 Depth=2
	v_and_b32_e32 v8, 0x7c, v2
	v_and_b32_e32 v21, 3, v2
	v_cmp_ne_u32_e32 vcc, s66, v8
                                        ; implicit-def: $vgpr8
	s_and_saveexec_b64 s[52:53], vcc
	s_xor_b64 s[52:53], exec, s[52:53]
	s_cbranch_execz .LBB2_578
; %bb.577:                              ;   in Loop: Header=BB2_539 Depth=2
	v_ffbh_u32_e32 v23, v21
	v_min_u32_e32 v23, 32, v23
	v_bfe_u32 v8, v2, 2, 5
	v_subrev_u32_e32 v24, 29, v23
	v_lshlrev_b64 v[24:25], v24, v[2:3]
	v_sub_u32_e32 v3, 30, v23
	v_cmp_eq_u32_e32 vcc, 0, v8
	v_and_b32_e32 v23, 3, v24
	v_cndmask_b32_e32 v3, v8, v3, vcc
	v_cndmask_b32_e32 v8, v21, v23, vcc
	v_lshlrev_b32_e32 v21, 24, v2
	v_lshl_add_u32 v3, v3, 23, v47
	v_and_or_b32 v3, v21, s67, v3
	v_lshl_or_b32 v8, v8, 21, v3
                                        ; implicit-def: $vgpr21
.LBB2_578:                              ;   in Loop: Header=BB2_539 Depth=2
	s_andn2_saveexec_b64 s[52:53], s[52:53]
; %bb.579:                              ;   in Loop: Header=BB2_539 Depth=2
	v_cmp_gt_i16_sdwa vcc, sext(v2), v6 src0_sel:BYTE_0 src1_sel:DWORD
	v_cndmask_b32_e32 v3, v7, v10, vcc
	v_cmp_eq_u32_e32 vcc, 0, v21
	v_cndmask_b32_e32 v8, v11, v3, vcc
; %bb.580:                              ;   in Loop: Header=BB2_539 Depth=2
	s_or_b64 exec, exec, s[52:53]
.LBB2_581:                              ;   in Loop: Header=BB2_539 Depth=2
	s_or_b64 exec, exec, s[18:19]
.LBB2_582:                              ;   in Loop: Header=BB2_539 Depth=2
	s_or_b64 exec, exec, s[50:51]
	v_cmp_ne_u16_sdwa vcc, sext(v54), v55 src0_sel:BYTE_0 src1_sel:DWORD
	s_and_saveexec_b64 s[18:19], vcc
	s_cbranch_execz .LBB2_590
; %bb.583:                              ;   in Loop: Header=BB2_539 Depth=2
	v_cmp_ne_u16_sdwa vcc, sext(v54), s65 src0_sel:BYTE_0 src1_sel:DWORD
	v_bfrev_b32_e32 v9, 1
	s_and_saveexec_b64 s[50:51], vcc
	s_cbranch_execz .LBB2_589
; %bb.584:                              ;   in Loop: Header=BB2_539 Depth=2
	v_and_b32_e32 v9, 0x7c, v54
	v_and_b32_e32 v3, 3, v54
	v_cmp_ne_u32_e32 vcc, s66, v9
                                        ; implicit-def: $vgpr9
	s_and_saveexec_b64 s[52:53], vcc
	s_xor_b64 s[52:53], exec, s[52:53]
	s_cbranch_execz .LBB2_586
; %bb.585:                              ;   in Loop: Header=BB2_539 Depth=2
	v_ffbh_u32_e32 v21, v3
	v_bfe_u32 v9, v54, 2, 5
	v_min_u32_e32 v21, 32, v21
	v_subrev_u32_e32 v23, 29, v21
	v_sub_u32_e32 v21, 30, v21
	v_cmp_eq_u32_e32 vcc, 0, v9
	v_lshlrev_b64 v[24:25], v23, v[54:55]
	v_cndmask_b32_e32 v9, v9, v21, vcc
	v_and_b32_e32 v23, 3, v24
	v_lshlrev_b32_e32 v21, 24, v54
	v_lshl_add_u32 v9, v9, 23, v47
	v_cndmask_b32_e32 v3, v3, v23, vcc
	v_and_or_b32 v9, v21, s67, v9
	v_lshl_or_b32 v9, v3, 21, v9
                                        ; implicit-def: $vgpr3
.LBB2_586:                              ;   in Loop: Header=BB2_539 Depth=2
	s_andn2_saveexec_b64 s[52:53], s[52:53]
; %bb.587:                              ;   in Loop: Header=BB2_539 Depth=2
	v_cmp_gt_i16_sdwa vcc, sext(v54), v6 src0_sel:BYTE_0 src1_sel:DWORD
	v_cndmask_b32_e32 v9, v7, v10, vcc
	v_cmp_eq_u32_e32 vcc, 0, v3
	v_cndmask_b32_e32 v9, v11, v9, vcc
; %bb.588:                              ;   in Loop: Header=BB2_539 Depth=2
	s_or_b64 exec, exec, s[52:53]
.LBB2_589:                              ;   in Loop: Header=BB2_539 Depth=2
	s_or_b64 exec, exec, s[50:51]
.LBB2_590:                              ;   in Loop: Header=BB2_539 Depth=2
	s_or_b64 exec, exec, s[18:19]
	v_max_f32_e32 v3, v9, v9
	v_max_f32_e32 v8, v8, v8
	v_min_f32_e32 v9, v8, v3
.LBB2_591:                              ;   in Loop: Header=BB2_539 Depth=2
	s_or_b64 exec, exec, s[48:49]
	v_and_b32_sdwa v3, v9, s68 dst_sel:DWORD dst_unused:UNUSED_PAD src0_sel:BYTE_3 src1_sel:DWORD
	v_and_b32_e32 v28, 0x7f800000, v9
	v_mov_b32_e32 v29, v55
	v_and_b32_e32 v24, 0x7fffff, v9
	v_mov_b32_e32 v25, v55
	v_or_b32_e32 v8, 0x7b, v3
	v_cmp_ne_u64_e32 vcc, s[40:41], v[28:29]
	s_and_saveexec_b64 s[18:19], vcc
	s_xor_b64 s[48:49], exec, s[18:19]
	s_cbranch_execz .LBB2_601
; %bb.592:                              ;   in Loop: Header=BB2_539 Depth=2
	v_and_b32_e32 v28, 0x7fffffff, v9
	v_mov_b32_e32 v29, v55
	v_cmp_gt_u64_e32 vcc, s[42:43], v[28:29]
	s_and_saveexec_b64 s[50:51], vcc
	s_cbranch_execz .LBB2_600
; %bb.593:                              ;   in Loop: Header=BB2_539 Depth=2
	v_cmp_ne_u32_e32 vcc, 0, v9
	v_mov_b32_e32 v8, 0
	s_and_saveexec_b64 s[52:53], vcc
	s_cbranch_execz .LBB2_599
; %bb.594:                              ;   in Loop: Header=BB2_539 Depth=2
	v_bfe_u32 v8, v9, 23, 8
	v_sub_u32_e32 v21, 0x71, v8
	v_cmp_gt_u32_e32 vcc, s69, v8
	v_cndmask_b32_e32 v21, 0, v21, vcc
	v_cmp_eq_u32_e32 vcc, 0, v8
	v_cndmask_b32_e32 v21, v21, v48, vcc
	v_add_u32_e32 v9, 0xffffff81, v8
	v_add_u32_e32 v8, 21, v21
	v_or_b32_e32 v23, 0x800000, v24
	v_cndmask_b32_e32 v27, v9, v30, vcc
	v_lshlrev_b64 v[8:9], v8, -1
	v_cndmask_b32_e32 v24, v23, v24, vcc
	v_not_b32_e32 v8, v8
	v_and_b32_e32 v28, v24, v8
	v_add_u32_e32 v8, 20, v21
	v_lshrrev_b64 v[24:25], v21, v[24:25]
	v_not_b32_e32 v9, v9
	v_lshlrev_b64 v[36:37], v8, 1
	v_lshrrev_b32_e32 v8, 23, v24
	v_and_b32_e32 v29, 0, v9
	v_add3_u32 v21, v21, v27, v8
	v_bfe_u32 v8, v24, 21, 1
	v_add_u32_e32 v8, -1, v8
	v_cmp_eq_u64_e32 vcc, v[28:29], v[36:37]
	v_cndmask_b32_e32 v8, 0, v8, vcc
	v_add_u32_e32 v8, v8, v24
	v_and_b32_e32 v8, 0x1fffff, v8
	v_add_co_u32_e32 v24, vcc, v8, v24
	v_add_u32_e32 v9, 14, v21
	v_addc_co_u32_e32 v25, vcc, 0, v25, vcc
	v_cmp_ne_u32_e32 vcc, 0, v9
                                        ; implicit-def: $vgpr8
	s_and_saveexec_b64 s[18:19], vcc
	s_xor_b64 s[18:19], exec, s[18:19]
; %bb.595:                              ;   in Loop: Header=BB2_539 Depth=2
	v_add_u32_e32 v8, 15, v21
	v_cmp_lt_u64_e32 vcc, s[44:45], v[24:25]
	v_cndmask_b32_e32 v8, v9, v8, vcc
	v_cndmask_b32_e64 v9, 0, 1, vcc
	v_lshrrev_b64 v[24:25], v9, v[24:25]
; %bb.596:                              ;   in Loop: Header=BB2_539 Depth=2
	s_andn2_saveexec_b64 s[18:19], s[18:19]
; %bb.597:                              ;   in Loop: Header=BB2_539 Depth=2
	v_bfe_u32 v8, v24, 23, 1
; %bb.598:                              ;   in Loop: Header=BB2_539 Depth=2
	s_or_b64 exec, exec, s[18:19]
	v_lshrrev_b64 v[24:25], 21, v[24:25]
	v_cmp_gt_i32_e32 vcc, 32, v8
	v_cndmask_b32_e32 v25, 0, v25, vcc
	v_cndmask_b32_e32 v24, 3, v24, vcc
	v_cmp_eq_u32_e32 vcc, 0, v8
	v_min_i32_e32 v8, 31, v8
	v_cmp_eq_u64_e64 s[18:19], 0, v[24:25]
	v_lshlrev_b32_e32 v8, 2, v8
	v_and_or_b32 v8, v24, 3, v8
	s_and_b64 s[18:19], vcc, s[18:19]
	v_cndmask_b32_e64 v8, v8, 0, s[18:19]
	v_or_b32_e32 v8, v8, v3
.LBB2_599:                              ;   in Loop: Header=BB2_539 Depth=2
	s_or_b64 exec, exec, s[52:53]
.LBB2_600:                              ;   in Loop: Header=BB2_539 Depth=2
	s_or_b64 exec, exec, s[50:51]
                                        ; implicit-def: $vgpr9
                                        ; implicit-def: $vgpr24_vgpr25
.LBB2_601:                              ;   in Loop: Header=BB2_539 Depth=2
	s_andn2_saveexec_b64 s[18:19], s[48:49]
; %bb.602:                              ;   in Loop: Header=BB2_539 Depth=2
	v_or_b32_sdwa v3, v9, s70 dst_sel:DWORD dst_unused:UNUSED_PAD src0_sel:BYTE_3 src1_sel:DWORD
	v_cmp_eq_u64_e32 vcc, 0, v[24:25]
	v_cndmask_b32_e32 v8, v3, v8, vcc
; %bb.603:                              ;   in Loop: Header=BB2_539 Depth=2
	s_or_b64 exec, exec, s[18:19]
	v_lshrrev_b16_e32 v24, 8, v2
	v_lshrrev_b16_e32 v28, 8, v54
	v_cmp_ne_u16_e32 vcc, 0, v24
                                        ; implicit-def: $vgpr21
	s_and_saveexec_b64 s[18:19], s[14:15]
	s_xor_b64 s[48:49], exec, s[18:19]
	s_cbranch_execz .LBB2_621
; %bb.604:                              ;   in Loop: Header=BB2_539 Depth=2
	v_mov_b32_e32 v9, 0
	v_mov_b32_e32 v3, 0
	s_and_saveexec_b64 s[50:51], vcc
	s_cbranch_execz .LBB2_612
; %bb.605:                              ;   in Loop: Header=BB2_539 Depth=2
	v_cmp_ne_u16_e64 s[18:19], s68, v24
	v_bfrev_b32_e32 v3, 1
	s_and_saveexec_b64 s[52:53], s[18:19]
	s_cbranch_execz .LBB2_611
; %bb.606:                              ;   in Loop: Header=BB2_539 Depth=2
	v_and_b32_e32 v3, 0x7c, v24
	v_and_b32_e32 v21, 3, v24
	v_cmp_ne_u32_e64 s[18:19], s66, v3
                                        ; implicit-def: $vgpr3
	s_and_saveexec_b64 s[54:55], s[18:19]
	s_xor_b64 s[54:55], exec, s[54:55]
	s_cbranch_execz .LBB2_608
; %bb.607:                              ;   in Loop: Header=BB2_539 Depth=2
	v_ffbh_u32_e32 v23, v21
	v_bfe_u32 v3, v24, 2, 5
	v_min_u32_e32 v23, 32, v23
	v_mov_b32_e32 v25, v55
	v_subrev_u32_e32 v27, 29, v23
	v_sub_u32_e32 v23, 30, v23
	v_cmp_eq_u32_e64 s[18:19], 0, v3
	v_lshlrev_b64 v[24:25], v27, v[24:25]
	v_cndmask_b32_e64 v3, v3, v23, s[18:19]
	v_and_b32_e32 v24, 3, v24
	v_lshlrev_b32_e32 v23, 16, v2
	v_lshl_add_u32 v3, v3, 23, v47
	v_cndmask_b32_e64 v21, v21, v24, s[18:19]
	v_and_or_b32 v3, v23, s67, v3
	v_lshl_or_b32 v3, v21, 21, v3
                                        ; implicit-def: $vgpr21
.LBB2_608:                              ;   in Loop: Header=BB2_539 Depth=2
	s_andn2_saveexec_b64 s[54:55], s[54:55]
; %bb.609:                              ;   in Loop: Header=BB2_539 Depth=2
	v_cmp_lt_i16_e64 s[18:19], -1, v2
	v_cndmask_b32_e64 v3, v7, v10, s[18:19]
	v_cmp_eq_u32_e64 s[18:19], 0, v21
	v_cndmask_b32_e64 v3, v11, v3, s[18:19]
; %bb.610:                              ;   in Loop: Header=BB2_539 Depth=2
	s_or_b64 exec, exec, s[54:55]
.LBB2_611:                              ;   in Loop: Header=BB2_539 Depth=2
	s_or_b64 exec, exec, s[52:53]
.LBB2_612:                              ;   in Loop: Header=BB2_539 Depth=2
	s_or_b64 exec, exec, s[50:51]
	v_cmp_ne_u16_e64 s[18:19], 0, v28
	s_and_saveexec_b64 s[50:51], s[18:19]
	s_cbranch_execz .LBB2_620
; %bb.613:                              ;   in Loop: Header=BB2_539 Depth=2
	v_cmp_ne_u16_e64 s[18:19], s68, v28
	v_bfrev_b32_e32 v9, 1
	s_and_saveexec_b64 s[52:53], s[18:19]
	s_cbranch_execz .LBB2_619
; %bb.614:                              ;   in Loop: Header=BB2_539 Depth=2
	v_and_b32_e32 v9, 0x7c, v28
	v_and_b32_e32 v21, 3, v28
	v_cmp_ne_u32_e64 s[18:19], s66, v9
                                        ; implicit-def: $vgpr9
	s_and_saveexec_b64 s[54:55], s[18:19]
	s_xor_b64 s[54:55], exec, s[54:55]
	s_cbranch_execz .LBB2_616
; %bb.615:                              ;   in Loop: Header=BB2_539 Depth=2
	v_ffbh_u32_e32 v23, v21
	v_bfe_u32 v9, v28, 2, 5
	v_min_u32_e32 v23, 32, v23
	v_mov_b32_e32 v29, v55
	v_subrev_u32_e32 v24, 29, v23
	v_sub_u32_e32 v23, 30, v23
	v_cmp_eq_u32_e64 s[18:19], 0, v9
	v_lshlrev_b64 v[24:25], v24, v[28:29]
	v_cndmask_b32_e64 v9, v9, v23, s[18:19]
	v_and_b32_e32 v24, 3, v24
	v_lshlrev_b32_e32 v23, 16, v54
	v_lshl_add_u32 v9, v9, 23, v47
	v_cndmask_b32_e64 v21, v21, v24, s[18:19]
	v_and_or_b32 v9, v23, s67, v9
	v_lshl_or_b32 v9, v21, 21, v9
                                        ; implicit-def: $vgpr21
.LBB2_616:                              ;   in Loop: Header=BB2_539 Depth=2
	s_andn2_saveexec_b64 s[54:55], s[54:55]
; %bb.617:                              ;   in Loop: Header=BB2_539 Depth=2
	v_cmp_lt_i16_e64 s[18:19], -1, v54
	v_cndmask_b32_e64 v9, v7, v10, s[18:19]
	v_cmp_eq_u32_e64 s[18:19], 0, v21
	v_cndmask_b32_e64 v9, v11, v9, s[18:19]
; %bb.618:                              ;   in Loop: Header=BB2_539 Depth=2
	s_or_b64 exec, exec, s[54:55]
.LBB2_619:                              ;   in Loop: Header=BB2_539 Depth=2
	s_or_b64 exec, exec, s[52:53]
.LBB2_620:                              ;   in Loop: Header=BB2_539 Depth=2
	s_or_b64 exec, exec, s[50:51]
	v_max_f32_e32 v9, v9, v9
	v_max_f32_e32 v3, v3, v3
	;; [unrolled: 1-line block ×3, first 2 shown]
                                        ; implicit-def: $vgpr28
                                        ; implicit-def: $vgpr24
.LBB2_621:                              ;   in Loop: Header=BB2_539 Depth=2
	s_andn2_saveexec_b64 s[18:19], s[48:49]
	s_cbranch_execz .LBB2_639
; %bb.622:                              ;   in Loop: Header=BB2_539 Depth=2
	v_mov_b32_e32 v9, 0
	v_mov_b32_e32 v3, 0
	s_and_saveexec_b64 s[48:49], vcc
	s_cbranch_execz .LBB2_630
; %bb.623:                              ;   in Loop: Header=BB2_539 Depth=2
	v_cmp_ne_u16_e32 vcc, s68, v24
	v_bfrev_b32_e32 v3, 1
	s_and_saveexec_b64 s[50:51], vcc
	s_cbranch_execz .LBB2_629
; %bb.624:                              ;   in Loop: Header=BB2_539 Depth=2
	v_and_b32_e32 v3, 0x7c, v24
	v_and_b32_e32 v21, 3, v24
	v_cmp_ne_u32_e32 vcc, s66, v3
                                        ; implicit-def: $vgpr3
	s_and_saveexec_b64 s[52:53], vcc
	s_xor_b64 s[52:53], exec, s[52:53]
	s_cbranch_execz .LBB2_626
; %bb.625:                              ;   in Loop: Header=BB2_539 Depth=2
	v_ffbh_u32_e32 v23, v21
	v_bfe_u32 v3, v24, 2, 5
	v_min_u32_e32 v23, 32, v23
	v_mov_b32_e32 v25, v55
	v_subrev_u32_e32 v27, 29, v23
	v_sub_u32_e32 v23, 30, v23
	v_cmp_eq_u32_e32 vcc, 0, v3
	v_lshlrev_b64 v[24:25], v27, v[24:25]
	v_cndmask_b32_e32 v3, v3, v23, vcc
	v_and_b32_e32 v24, 3, v24
	v_lshlrev_b32_e32 v23, 16, v2
	v_lshl_add_u32 v3, v3, 23, v47
	v_cndmask_b32_e32 v21, v21, v24, vcc
	v_and_or_b32 v3, v23, s67, v3
	v_lshl_or_b32 v3, v21, 21, v3
                                        ; implicit-def: $vgpr21
.LBB2_626:                              ;   in Loop: Header=BB2_539 Depth=2
	s_andn2_saveexec_b64 s[52:53], s[52:53]
; %bb.627:                              ;   in Loop: Header=BB2_539 Depth=2
	v_cmp_lt_i16_e32 vcc, -1, v2
	v_cndmask_b32_e32 v3, v7, v10, vcc
	v_cmp_eq_u32_e32 vcc, 0, v21
	v_cndmask_b32_e32 v3, v11, v3, vcc
; %bb.628:                              ;   in Loop: Header=BB2_539 Depth=2
	s_or_b64 exec, exec, s[52:53]
.LBB2_629:                              ;   in Loop: Header=BB2_539 Depth=2
	s_or_b64 exec, exec, s[50:51]
.LBB2_630:                              ;   in Loop: Header=BB2_539 Depth=2
	s_or_b64 exec, exec, s[48:49]
	v_cmp_ne_u16_e32 vcc, 0, v28
	s_and_saveexec_b64 s[48:49], vcc
	s_cbranch_execz .LBB2_638
; %bb.631:                              ;   in Loop: Header=BB2_539 Depth=2
	v_cmp_ne_u16_e32 vcc, s68, v28
	v_bfrev_b32_e32 v9, 1
	s_and_saveexec_b64 s[50:51], vcc
	s_cbranch_execz .LBB2_637
; %bb.632:                              ;   in Loop: Header=BB2_539 Depth=2
	v_and_b32_e32 v9, 0x7c, v28
	v_and_b32_e32 v21, 3, v28
	v_cmp_ne_u32_e32 vcc, s66, v9
                                        ; implicit-def: $vgpr9
	s_and_saveexec_b64 s[52:53], vcc
	s_xor_b64 s[52:53], exec, s[52:53]
	s_cbranch_execz .LBB2_634
; %bb.633:                              ;   in Loop: Header=BB2_539 Depth=2
	v_ffbh_u32_e32 v23, v21
	v_bfe_u32 v9, v28, 2, 5
	v_min_u32_e32 v23, 32, v23
	v_mov_b32_e32 v29, v55
	v_subrev_u32_e32 v24, 29, v23
	v_sub_u32_e32 v23, 30, v23
	v_cmp_eq_u32_e32 vcc, 0, v9
	v_lshlrev_b64 v[24:25], v24, v[28:29]
	v_cndmask_b32_e32 v9, v9, v23, vcc
	v_and_b32_e32 v24, 3, v24
	v_lshlrev_b32_e32 v23, 16, v54
	v_lshl_add_u32 v9, v9, 23, v47
	v_cndmask_b32_e32 v21, v21, v24, vcc
	v_and_or_b32 v9, v23, s67, v9
	v_lshl_or_b32 v9, v21, 21, v9
                                        ; implicit-def: $vgpr21
.LBB2_634:                              ;   in Loop: Header=BB2_539 Depth=2
	s_andn2_saveexec_b64 s[52:53], s[52:53]
; %bb.635:                              ;   in Loop: Header=BB2_539 Depth=2
	v_cmp_lt_i16_e32 vcc, -1, v54
	v_cndmask_b32_e32 v9, v7, v10, vcc
	v_cmp_eq_u32_e32 vcc, 0, v21
	v_cndmask_b32_e32 v9, v11, v9, vcc
; %bb.636:                              ;   in Loop: Header=BB2_539 Depth=2
	s_or_b64 exec, exec, s[52:53]
.LBB2_637:                              ;   in Loop: Header=BB2_539 Depth=2
	s_or_b64 exec, exec, s[50:51]
.LBB2_638:                              ;   in Loop: Header=BB2_539 Depth=2
	s_or_b64 exec, exec, s[48:49]
	v_max_f32_e32 v9, v9, v9
	v_max_f32_e32 v3, v3, v3
	v_min_f32_e32 v21, v3, v9
.LBB2_639:                              ;   in Loop: Header=BB2_539 Depth=2
	s_or_b64 exec, exec, s[18:19]
	v_and_b32_sdwa v3, v21, s68 dst_sel:DWORD dst_unused:UNUSED_PAD src0_sel:BYTE_3 src1_sel:DWORD
	v_and_b32_e32 v28, 0x7f800000, v21
	v_mov_b32_e32 v29, v55
	v_and_b32_e32 v24, 0x7fffff, v21
	v_mov_b32_e32 v25, v55
	v_or_b32_e32 v9, 0x7b, v3
	v_cmp_ne_u64_e32 vcc, s[40:41], v[28:29]
	s_and_saveexec_b64 s[18:19], vcc
	s_xor_b64 s[48:49], exec, s[18:19]
	s_cbranch_execz .LBB2_649
; %bb.640:                              ;   in Loop: Header=BB2_539 Depth=2
	v_and_b32_e32 v28, 0x7fffffff, v21
	v_mov_b32_e32 v29, v55
	v_cmp_gt_u64_e32 vcc, s[42:43], v[28:29]
	s_and_saveexec_b64 s[50:51], vcc
	s_cbranch_execz .LBB2_648
; %bb.641:                              ;   in Loop: Header=BB2_539 Depth=2
	v_cmp_ne_u32_e32 vcc, 0, v21
	v_mov_b32_e32 v9, 0
	s_and_saveexec_b64 s[52:53], vcc
	s_cbranch_execz .LBB2_647
; %bb.642:                              ;   in Loop: Header=BB2_539 Depth=2
	v_bfe_u32 v9, v21, 23, 8
	v_sub_u32_e32 v23, 0x71, v9
	v_cmp_gt_u32_e32 vcc, s69, v9
	v_add_u32_e32 v21, 0xffffff81, v9
	v_cndmask_b32_e32 v23, 0, v23, vcc
	v_cmp_eq_u32_e32 vcc, 0, v9
	v_cndmask_b32_e32 v9, v21, v30, vcc
	v_cndmask_b32_e32 v21, v23, v48, vcc
	v_add_u32_e32 v23, 21, v21
	v_or_b32_e32 v27, 0x800000, v24
	v_lshlrev_b64 v[28:29], v23, -1
	v_cndmask_b32_e32 v24, v27, v24, vcc
	v_not_b32_e32 v23, v29
	v_not_b32_e32 v27, v28
	v_and_b32_e32 v29, 0, v23
	v_and_b32_e32 v28, v24, v27
	v_add_u32_e32 v23, 20, v21
	v_lshrrev_b64 v[24:25], v21, v[24:25]
	v_lshlrev_b64 v[36:37], v23, 1
	v_lshrrev_b32_e32 v23, 23, v24
	v_add3_u32 v23, v21, v9, v23
	v_bfe_u32 v9, v24, 21, 1
	v_add_u32_e32 v9, -1, v9
	v_cmp_eq_u64_e32 vcc, v[28:29], v[36:37]
	v_cndmask_b32_e32 v9, 0, v9, vcc
	v_add_u32_e32 v9, v9, v24
	v_and_b32_e32 v9, 0x1fffff, v9
	v_add_co_u32_e32 v24, vcc, v9, v24
	v_add_u32_e32 v21, 14, v23
	v_addc_co_u32_e32 v25, vcc, 0, v25, vcc
	v_cmp_ne_u32_e32 vcc, 0, v21
                                        ; implicit-def: $vgpr9
	s_and_saveexec_b64 s[18:19], vcc
	s_xor_b64 s[18:19], exec, s[18:19]
; %bb.643:                              ;   in Loop: Header=BB2_539 Depth=2
	v_add_u32_e32 v9, 15, v23
	v_cmp_lt_u64_e32 vcc, s[44:45], v[24:25]
	v_cndmask_b32_e32 v9, v21, v9, vcc
	v_cndmask_b32_e64 v21, 0, 1, vcc
	v_lshrrev_b64 v[24:25], v21, v[24:25]
; %bb.644:                              ;   in Loop: Header=BB2_539 Depth=2
	s_andn2_saveexec_b64 s[18:19], s[18:19]
; %bb.645:                              ;   in Loop: Header=BB2_539 Depth=2
	v_bfe_u32 v9, v24, 23, 1
; %bb.646:                              ;   in Loop: Header=BB2_539 Depth=2
	s_or_b64 exec, exec, s[18:19]
	v_lshrrev_b64 v[24:25], 21, v[24:25]
	v_cmp_gt_i32_e32 vcc, 32, v9
	v_cndmask_b32_e32 v25, 0, v25, vcc
	v_cndmask_b32_e32 v24, 3, v24, vcc
	v_cmp_eq_u32_e32 vcc, 0, v9
	v_min_i32_e32 v9, 31, v9
	v_cmp_eq_u64_e64 s[18:19], 0, v[24:25]
	v_lshlrev_b32_e32 v9, 2, v9
	v_and_or_b32 v9, v24, 3, v9
	s_and_b64 s[18:19], vcc, s[18:19]
	v_cndmask_b32_e64 v9, v9, 0, s[18:19]
	v_or_b32_e32 v9, v9, v3
.LBB2_647:                              ;   in Loop: Header=BB2_539 Depth=2
	s_or_b64 exec, exec, s[52:53]
.LBB2_648:                              ;   in Loop: Header=BB2_539 Depth=2
	s_or_b64 exec, exec, s[50:51]
                                        ; implicit-def: $vgpr21
                                        ; implicit-def: $vgpr24_vgpr25
.LBB2_649:                              ;   in Loop: Header=BB2_539 Depth=2
	s_andn2_saveexec_b64 s[18:19], s[48:49]
; %bb.650:                              ;   in Loop: Header=BB2_539 Depth=2
	v_or_b32_sdwa v3, v21, s70 dst_sel:DWORD dst_unused:UNUSED_PAD src0_sel:BYTE_3 src1_sel:DWORD
	v_cmp_eq_u64_e32 vcc, 0, v[24:25]
	v_cndmask_b32_e32 v9, v3, v9, vcc
; %bb.651:                              ;   in Loop: Header=BB2_539 Depth=2
	s_or_b64 exec, exec, s[18:19]
	v_lshrrev_b32_e32 v40, 16, v2
	v_lshrrev_b32_e32 v28, 16, v54
	v_cmp_ne_u16_sdwa s[18:19], v40, v55 src0_sel:BYTE_0 src1_sel:DWORD
                                        ; implicit-def: $vgpr23
	s_and_saveexec_b64 vcc, s[14:15]
	s_xor_b64 s[48:49], exec, vcc
	s_cbranch_execz .LBB2_669
; %bb.652:                              ;   in Loop: Header=BB2_539 Depth=2
	v_mov_b32_e32 v21, 0
	v_mov_b32_e32 v3, 0
	s_and_saveexec_b64 s[50:51], s[18:19]
	s_cbranch_execz .LBB2_660
; %bb.653:                              ;   in Loop: Header=BB2_539 Depth=2
	v_cmp_ne_u16_sdwa vcc, v40, s68 src0_sel:BYTE_0 src1_sel:DWORD
	v_bfrev_b32_e32 v3, 1
	s_and_saveexec_b64 s[52:53], vcc
	s_cbranch_execz .LBB2_659
; %bb.654:                              ;   in Loop: Header=BB2_539 Depth=2
	v_and_b32_e32 v3, 0x7c0000, v2
	v_bfe_u32 v23, v2, 16, 2
	v_cmp_ne_u32_e32 vcc, s71, v3
                                        ; implicit-def: $vgpr3
	s_and_saveexec_b64 s[54:55], vcc
	s_xor_b64 s[54:55], exec, s[54:55]
	s_cbranch_execz .LBB2_656
; %bb.655:                              ;   in Loop: Header=BB2_539 Depth=2
	v_ffbh_u32_e32 v24, v23
	v_min_u32_e32 v27, 32, v24
	v_subrev_u32_e32 v24, 29, v27
	v_bfe_u32 v3, v2, 18, 5
	v_lshlrev_b64 v[24:25], v24, v[40:41]
	v_sub_u32_e32 v25, 30, v27
	v_cmp_eq_u32_e32 vcc, 0, v3
	v_and_b32_e32 v24, 3, v24
	v_cndmask_b32_e32 v3, v3, v25, vcc
	v_cndmask_b32_e32 v23, v23, v24, vcc
	v_lshlrev_b32_e32 v24, 24, v40
	v_lshl_add_u32 v3, v3, 23, v47
	v_and_or_b32 v3, v24, s67, v3
	v_lshl_or_b32 v3, v23, 21, v3
                                        ; implicit-def: $vgpr23
                                        ; implicit-def: $vgpr40
.LBB2_656:                              ;   in Loop: Header=BB2_539 Depth=2
	s_andn2_saveexec_b64 s[54:55], s[54:55]
; %bb.657:                              ;   in Loop: Header=BB2_539 Depth=2
	v_cmp_gt_i16_sdwa vcc, sext(v40), v6 src0_sel:BYTE_0 src1_sel:DWORD
	v_cndmask_b32_e32 v3, v7, v10, vcc
	v_cmp_eq_u32_e32 vcc, 0, v23
	v_cndmask_b32_e32 v3, v11, v3, vcc
; %bb.658:                              ;   in Loop: Header=BB2_539 Depth=2
	s_or_b64 exec, exec, s[54:55]
.LBB2_659:                              ;   in Loop: Header=BB2_539 Depth=2
	s_or_b64 exec, exec, s[52:53]
.LBB2_660:                              ;   in Loop: Header=BB2_539 Depth=2
	s_or_b64 exec, exec, s[50:51]
	v_and_b32_sdwa v24, v54, s64 dst_sel:DWORD dst_unused:UNUSED_PAD src0_sel:WORD_1 src1_sel:DWORD
	v_lshrrev_b32_e32 v23, 16, v54
	v_cmp_ne_u16_e32 vcc, 0, v24
	s_and_saveexec_b64 s[50:51], vcc
	s_cbranch_execz .LBB2_668
; %bb.661:                              ;   in Loop: Header=BB2_539 Depth=2
	v_cmp_ne_u16_e32 vcc, s68, v24
	v_bfrev_b32_e32 v21, 1
	s_and_saveexec_b64 s[52:53], vcc
	s_cbranch_execz .LBB2_667
; %bb.662:                              ;   in Loop: Header=BB2_539 Depth=2
	v_and_b32_e32 v21, 0x7c0000, v54
	v_bfe_u32 v24, v54, 16, 2
	v_cmp_ne_u32_e32 vcc, s71, v21
                                        ; implicit-def: $vgpr21
	s_and_saveexec_b64 s[54:55], vcc
	s_xor_b64 s[54:55], exec, s[54:55]
	s_cbranch_execz .LBB2_664
; %bb.663:                              ;   in Loop: Header=BB2_539 Depth=2
	v_ffbh_u32_e32 v23, v24
	v_min_u32_e32 v23, 32, v23
	v_bfe_u32 v21, v54, 18, 5
	v_subrev_u32_e32 v25, 29, v23
	v_lshlrev_b64 v[36:37], v25, v[28:29]
	v_sub_u32_e32 v23, 30, v23
	v_cmp_eq_u32_e32 vcc, 0, v21
	v_and_b32_e32 v25, 3, v36
	v_cndmask_b32_e32 v21, v21, v23, vcc
	v_cndmask_b32_e32 v23, v24, v25, vcc
	v_lshlrev_b32_e32 v24, 24, v28
	v_lshl_add_u32 v21, v21, 23, v47
	v_and_or_b32 v21, v24, s67, v21
	v_lshl_or_b32 v21, v23, 21, v21
                                        ; implicit-def: $vgpr24
                                        ; implicit-def: $vgpr23
.LBB2_664:                              ;   in Loop: Header=BB2_539 Depth=2
	s_andn2_saveexec_b64 s[54:55], s[54:55]
; %bb.665:                              ;   in Loop: Header=BB2_539 Depth=2
	v_cmp_gt_i16_sdwa vcc, sext(v23), v6 src0_sel:BYTE_0 src1_sel:DWORD
	v_cndmask_b32_e32 v21, v7, v10, vcc
	v_cmp_eq_u32_e32 vcc, 0, v24
	v_cndmask_b32_e32 v21, v11, v21, vcc
; %bb.666:                              ;   in Loop: Header=BB2_539 Depth=2
	s_or_b64 exec, exec, s[54:55]
.LBB2_667:                              ;   in Loop: Header=BB2_539 Depth=2
	s_or_b64 exec, exec, s[52:53]
.LBB2_668:                              ;   in Loop: Header=BB2_539 Depth=2
	s_or_b64 exec, exec, s[50:51]
	v_max_f32_e32 v21, v21, v21
	v_max_f32_e32 v3, v3, v3
	;; [unrolled: 1-line block ×3, first 2 shown]
                                        ; implicit-def: $vgpr40
                                        ; implicit-def: $vgpr28
.LBB2_669:                              ;   in Loop: Header=BB2_539 Depth=2
	s_andn2_saveexec_b64 s[48:49], s[48:49]
	s_cbranch_execz .LBB2_687
; %bb.670:                              ;   in Loop: Header=BB2_539 Depth=2
	v_mov_b32_e32 v21, 0
	v_mov_b32_e32 v3, 0
	s_and_saveexec_b64 s[50:51], s[18:19]
	s_cbranch_execz .LBB2_678
; %bb.671:                              ;   in Loop: Header=BB2_539 Depth=2
	v_cmp_ne_u16_sdwa vcc, v40, s68 src0_sel:BYTE_0 src1_sel:DWORD
	v_bfrev_b32_e32 v3, 1
	s_and_saveexec_b64 s[18:19], vcc
	s_cbranch_execz .LBB2_677
; %bb.672:                              ;   in Loop: Header=BB2_539 Depth=2
	v_and_b32_e32 v3, 0x7c0000, v2
	v_bfe_u32 v23, v2, 16, 2
	v_cmp_ne_u32_e32 vcc, s71, v3
                                        ; implicit-def: $vgpr3
	s_and_saveexec_b64 s[52:53], vcc
	s_xor_b64 s[52:53], exec, s[52:53]
	s_cbranch_execz .LBB2_674
; %bb.673:                              ;   in Loop: Header=BB2_539 Depth=2
	v_ffbh_u32_e32 v24, v23
	v_min_u32_e32 v27, 32, v24
	v_subrev_u32_e32 v24, 29, v27
	v_bfe_u32 v3, v2, 18, 5
	v_lshlrev_b64 v[24:25], v24, v[40:41]
	v_sub_u32_e32 v25, 30, v27
	v_cmp_eq_u32_e32 vcc, 0, v3
	v_and_b32_e32 v24, 3, v24
	v_cndmask_b32_e32 v3, v3, v25, vcc
	v_cndmask_b32_e32 v23, v23, v24, vcc
	v_lshlrev_b32_e32 v24, 24, v40
	v_lshl_add_u32 v3, v3, 23, v47
	v_and_or_b32 v3, v24, s67, v3
	v_lshl_or_b32 v3, v23, 21, v3
                                        ; implicit-def: $vgpr23
                                        ; implicit-def: $vgpr40
.LBB2_674:                              ;   in Loop: Header=BB2_539 Depth=2
	s_andn2_saveexec_b64 s[52:53], s[52:53]
; %bb.675:                              ;   in Loop: Header=BB2_539 Depth=2
	v_cmp_gt_i16_sdwa vcc, sext(v40), v6 src0_sel:BYTE_0 src1_sel:DWORD
	v_cndmask_b32_e32 v3, v7, v10, vcc
	v_cmp_eq_u32_e32 vcc, 0, v23
	v_cndmask_b32_e32 v3, v11, v3, vcc
; %bb.676:                              ;   in Loop: Header=BB2_539 Depth=2
	s_or_b64 exec, exec, s[52:53]
.LBB2_677:                              ;   in Loop: Header=BB2_539 Depth=2
	s_or_b64 exec, exec, s[18:19]
.LBB2_678:                              ;   in Loop: Header=BB2_539 Depth=2
	s_or_b64 exec, exec, s[50:51]
	v_and_b32_sdwa v24, v54, s64 dst_sel:DWORD dst_unused:UNUSED_PAD src0_sel:WORD_1 src1_sel:DWORD
	v_lshrrev_b32_e32 v23, 16, v54
	v_cmp_ne_u16_e32 vcc, 0, v24
	s_and_saveexec_b64 s[18:19], vcc
	s_cbranch_execz .LBB2_686
; %bb.679:                              ;   in Loop: Header=BB2_539 Depth=2
	v_cmp_ne_u16_e32 vcc, s68, v24
	v_bfrev_b32_e32 v21, 1
	s_and_saveexec_b64 s[50:51], vcc
	s_cbranch_execz .LBB2_685
; %bb.680:                              ;   in Loop: Header=BB2_539 Depth=2
	v_and_b32_e32 v21, 0x7c0000, v54
	v_bfe_u32 v24, v54, 16, 2
	v_cmp_ne_u32_e32 vcc, s71, v21
                                        ; implicit-def: $vgpr21
	s_and_saveexec_b64 s[52:53], vcc
	s_xor_b64 s[52:53], exec, s[52:53]
	s_cbranch_execz .LBB2_682
; %bb.681:                              ;   in Loop: Header=BB2_539 Depth=2
	v_ffbh_u32_e32 v23, v24
	v_min_u32_e32 v23, 32, v23
	v_bfe_u32 v21, v54, 18, 5
	v_subrev_u32_e32 v25, 29, v23
	v_lshlrev_b64 v[36:37], v25, v[28:29]
	v_sub_u32_e32 v23, 30, v23
	v_cmp_eq_u32_e32 vcc, 0, v21
	v_and_b32_e32 v25, 3, v36
	v_cndmask_b32_e32 v21, v21, v23, vcc
	v_cndmask_b32_e32 v23, v24, v25, vcc
	v_lshlrev_b32_e32 v24, 24, v28
	v_lshl_add_u32 v21, v21, 23, v47
	v_and_or_b32 v21, v24, s67, v21
	v_lshl_or_b32 v21, v23, 21, v21
                                        ; implicit-def: $vgpr24
                                        ; implicit-def: $vgpr23
.LBB2_682:                              ;   in Loop: Header=BB2_539 Depth=2
	s_andn2_saveexec_b64 s[52:53], s[52:53]
; %bb.683:                              ;   in Loop: Header=BB2_539 Depth=2
	v_cmp_gt_i16_sdwa vcc, sext(v23), v6 src0_sel:BYTE_0 src1_sel:DWORD
	v_cndmask_b32_e32 v21, v7, v10, vcc
	v_cmp_eq_u32_e32 vcc, 0, v24
	v_cndmask_b32_e32 v21, v11, v21, vcc
; %bb.684:                              ;   in Loop: Header=BB2_539 Depth=2
	s_or_b64 exec, exec, s[52:53]
.LBB2_685:                              ;   in Loop: Header=BB2_539 Depth=2
	s_or_b64 exec, exec, s[50:51]
.LBB2_686:                              ;   in Loop: Header=BB2_539 Depth=2
	s_or_b64 exec, exec, s[18:19]
	v_max_f32_e32 v21, v21, v21
	v_max_f32_e32 v3, v3, v3
	v_min_f32_e32 v23, v3, v21
.LBB2_687:                              ;   in Loop: Header=BB2_539 Depth=2
	s_or_b64 exec, exec, s[48:49]
	v_and_b32_sdwa v3, v23, s68 dst_sel:DWORD dst_unused:UNUSED_PAD src0_sel:BYTE_3 src1_sel:DWORD
	v_and_b32_e32 v28, 0x7f800000, v23
	v_mov_b32_e32 v29, v55
	v_and_b32_e32 v24, 0x7fffff, v23
	v_mov_b32_e32 v25, v55
	v_or_b32_e32 v21, 0x7b, v3
	v_cmp_ne_u64_e32 vcc, s[40:41], v[28:29]
	s_and_saveexec_b64 s[18:19], vcc
	s_xor_b64 s[48:49], exec, s[18:19]
	s_cbranch_execz .LBB2_697
; %bb.688:                              ;   in Loop: Header=BB2_539 Depth=2
	v_and_b32_e32 v28, 0x7fffffff, v23
	v_mov_b32_e32 v29, v55
	v_cmp_gt_u64_e32 vcc, s[42:43], v[28:29]
	s_and_saveexec_b64 s[50:51], vcc
	s_cbranch_execz .LBB2_696
; %bb.689:                              ;   in Loop: Header=BB2_539 Depth=2
	v_cmp_ne_u32_e32 vcc, 0, v23
	v_mov_b32_e32 v21, 0
	s_and_saveexec_b64 s[52:53], vcc
	s_cbranch_execz .LBB2_695
; %bb.690:                              ;   in Loop: Header=BB2_539 Depth=2
	v_bfe_u32 v21, v23, 23, 8
	v_sub_u32_e32 v27, 0x71, v21
	v_cmp_gt_u32_e32 vcc, s69, v21
	v_add_u32_e32 v23, 0xffffff81, v21
	v_cndmask_b32_e32 v27, 0, v27, vcc
	v_cmp_eq_u32_e32 vcc, 0, v21
	v_cndmask_b32_e32 v21, v23, v30, vcc
	v_cndmask_b32_e32 v23, v27, v48, vcc
	v_or_b32_e32 v28, 0x800000, v24
	v_add_u32_e32 v27, 21, v23
	v_cndmask_b32_e32 v24, v28, v24, vcc
	v_lshlrev_b64 v[28:29], v27, -1
	v_not_b32_e32 v27, v29
	v_not_b32_e32 v28, v28
	v_and_b32_e32 v29, 0, v27
	v_and_b32_e32 v28, v24, v28
	v_add_u32_e32 v27, 20, v23
	v_lshrrev_b64 v[24:25], v23, v[24:25]
	v_lshlrev_b64 v[36:37], v27, 1
	v_lshrrev_b32_e32 v27, 23, v24
	v_add3_u32 v27, v23, v21, v27
	v_bfe_u32 v21, v24, 21, 1
	v_add_u32_e32 v21, -1, v21
	v_cmp_eq_u64_e32 vcc, v[28:29], v[36:37]
	v_cndmask_b32_e32 v21, 0, v21, vcc
	v_add_u32_e32 v21, v21, v24
	v_and_b32_e32 v21, 0x1fffff, v21
	v_add_co_u32_e32 v24, vcc, v21, v24
	v_add_u32_e32 v23, 14, v27
	v_addc_co_u32_e32 v25, vcc, 0, v25, vcc
	v_cmp_ne_u32_e32 vcc, 0, v23
                                        ; implicit-def: $vgpr21
	s_and_saveexec_b64 s[18:19], vcc
	s_xor_b64 s[18:19], exec, s[18:19]
; %bb.691:                              ;   in Loop: Header=BB2_539 Depth=2
	v_add_u32_e32 v21, 15, v27
	v_cmp_lt_u64_e32 vcc, s[44:45], v[24:25]
	v_cndmask_b32_e32 v21, v23, v21, vcc
	v_cndmask_b32_e64 v23, 0, 1, vcc
	v_lshrrev_b64 v[24:25], v23, v[24:25]
; %bb.692:                              ;   in Loop: Header=BB2_539 Depth=2
	s_andn2_saveexec_b64 s[18:19], s[18:19]
; %bb.693:                              ;   in Loop: Header=BB2_539 Depth=2
	v_bfe_u32 v21, v24, 23, 1
; %bb.694:                              ;   in Loop: Header=BB2_539 Depth=2
	s_or_b64 exec, exec, s[18:19]
	v_lshrrev_b64 v[24:25], 21, v[24:25]
	v_cmp_gt_i32_e32 vcc, 32, v21
	v_cndmask_b32_e32 v25, 0, v25, vcc
	v_cndmask_b32_e32 v24, 3, v24, vcc
	v_cmp_eq_u32_e32 vcc, 0, v21
	v_min_i32_e32 v21, 31, v21
	v_cmp_eq_u64_e64 s[18:19], 0, v[24:25]
	v_lshlrev_b32_e32 v21, 2, v21
	v_and_or_b32 v21, v24, 3, v21
	s_and_b64 s[18:19], vcc, s[18:19]
	v_cndmask_b32_e64 v21, v21, 0, s[18:19]
	v_or_b32_e32 v21, v21, v3
.LBB2_695:                              ;   in Loop: Header=BB2_539 Depth=2
	s_or_b64 exec, exec, s[52:53]
.LBB2_696:                              ;   in Loop: Header=BB2_539 Depth=2
	s_or_b64 exec, exec, s[50:51]
                                        ; implicit-def: $vgpr23
                                        ; implicit-def: $vgpr24_vgpr25
.LBB2_697:                              ;   in Loop: Header=BB2_539 Depth=2
	s_andn2_saveexec_b64 s[18:19], s[48:49]
; %bb.698:                              ;   in Loop: Header=BB2_539 Depth=2
	v_or_b32_sdwa v3, v23, s70 dst_sel:DWORD dst_unused:UNUSED_PAD src0_sel:BYTE_3 src1_sel:DWORD
	v_cmp_eq_u64_e32 vcc, 0, v[24:25]
	v_cndmask_b32_e32 v21, v3, v21, vcc
; %bb.699:                              ;   in Loop: Header=BB2_539 Depth=2
	s_or_b64 exec, exec, s[18:19]
	v_lshrrev_b32_e32 v24, 24, v2
	v_lshrrev_b32_e32 v28, 24, v54
	v_cmp_lt_u32_e32 vcc, s39, v2
                                        ; implicit-def: $vgpr3
	s_and_saveexec_b64 s[18:19], s[14:15]
	s_xor_b64 s[48:49], exec, s[18:19]
	s_cbranch_execz .LBB2_717
; %bb.700:                              ;   in Loop: Header=BB2_539 Depth=2
	v_mov_b32_e32 v23, 0
	v_mov_b32_e32 v3, 0
	s_and_saveexec_b64 s[50:51], vcc
	s_cbranch_execz .LBB2_708
; %bb.701:                              ;   in Loop: Header=BB2_539 Depth=2
	v_cmp_ne_u32_e64 s[18:19], s68, v24
	v_bfrev_b32_e32 v3, 1
	s_and_saveexec_b64 s[52:53], s[18:19]
	s_cbranch_execz .LBB2_707
; %bb.702:                              ;   in Loop: Header=BB2_539 Depth=2
	v_and_b32_e32 v3, 0x7c000000, v2
	v_bfe_u32 v25, v2, 24, 2
	v_cmp_ne_u32_e64 s[18:19], s72, v3
                                        ; implicit-def: $vgpr3
	s_and_saveexec_b64 s[54:55], s[18:19]
	s_xor_b64 s[54:55], exec, s[54:55]
	s_cbranch_execz .LBB2_704
; %bb.703:                              ;   in Loop: Header=BB2_539 Depth=2
	v_ffbh_u32_e32 v27, v25
	v_min_u32_e32 v27, 32, v27
	v_bfe_u32 v3, v2, 26, 5
	v_subrev_u32_e32 v29, 29, v27
	v_lshlrev_b64 v[36:37], v29, v[24:25]
	v_sub_u32_e32 v24, 30, v27
	v_cmp_eq_u32_e64 s[18:19], 0, v3
	v_cndmask_b32_e64 v3, v3, v24, s[18:19]
	v_and_b32_e32 v27, 3, v36
	v_lshl_add_u32 v3, v3, 23, v47
	v_cndmask_b32_e64 v24, v25, v27, s[18:19]
	v_and_or_b32 v2, v2, s67, v3
	v_lshl_or_b32 v3, v24, 21, v2
                                        ; implicit-def: $vgpr25
.LBB2_704:                              ;   in Loop: Header=BB2_539 Depth=2
	s_andn2_saveexec_b64 s[54:55], s[54:55]
; %bb.705:                              ;   in Loop: Header=BB2_539 Depth=2
	v_cmp_lt_i32_e64 s[18:19], -1, v2
	v_cndmask_b32_e64 v2, v7, v10, s[18:19]
	v_cmp_eq_u32_e64 s[18:19], 0, v25
	v_cndmask_b32_e64 v3, v11, v2, s[18:19]
; %bb.706:                              ;   in Loop: Header=BB2_539 Depth=2
	s_or_b64 exec, exec, s[54:55]
.LBB2_707:                              ;   in Loop: Header=BB2_539 Depth=2
	s_or_b64 exec, exec, s[52:53]
.LBB2_708:                              ;   in Loop: Header=BB2_539 Depth=2
	s_or_b64 exec, exec, s[50:51]
	v_cmp_lt_u32_e64 s[18:19], s39, v54
	s_and_saveexec_b64 s[50:51], s[18:19]
	s_cbranch_execz .LBB2_716
; %bb.709:                              ;   in Loop: Header=BB2_539 Depth=2
	v_cmp_ne_u32_e64 s[18:19], s68, v28
	v_bfrev_b32_e32 v23, 1
	s_and_saveexec_b64 s[52:53], s[18:19]
	s_cbranch_execz .LBB2_715
; %bb.710:                              ;   in Loop: Header=BB2_539 Depth=2
	v_and_b32_e32 v23, 0x7c000000, v54
	v_bfe_u32 v2, v54, 24, 2
	v_cmp_ne_u32_e64 s[18:19], s72, v23
                                        ; implicit-def: $vgpr23
	s_and_saveexec_b64 s[54:55], s[18:19]
	s_xor_b64 s[54:55], exec, s[54:55]
	s_cbranch_execz .LBB2_712
; %bb.711:                              ;   in Loop: Header=BB2_539 Depth=2
	v_ffbh_u32_e32 v24, v2
	v_min_u32_e32 v27, 32, v24
	v_subrev_u32_e32 v24, 29, v27
	v_bfe_u32 v23, v54, 26, 5
	v_lshlrev_b64 v[24:25], v24, v[28:29]
	v_sub_u32_e32 v25, 30, v27
	v_cmp_eq_u32_e64 s[18:19], 0, v23
	v_cndmask_b32_e64 v23, v23, v25, s[18:19]
	v_and_b32_e32 v24, 3, v24
	v_lshl_add_u32 v23, v23, 23, v47
	v_cndmask_b32_e64 v2, v2, v24, s[18:19]
	v_and_or_b32 v23, v54, s67, v23
	v_lshl_or_b32 v23, v2, 21, v23
                                        ; implicit-def: $vgpr2
.LBB2_712:                              ;   in Loop: Header=BB2_539 Depth=2
	s_andn2_saveexec_b64 s[54:55], s[54:55]
; %bb.713:                              ;   in Loop: Header=BB2_539 Depth=2
	v_cmp_lt_i32_e64 s[18:19], -1, v54
	v_cndmask_b32_e64 v23, v7, v10, s[18:19]
	v_cmp_eq_u32_e64 s[18:19], 0, v2
	v_cndmask_b32_e64 v23, v11, v23, s[18:19]
; %bb.714:                              ;   in Loop: Header=BB2_539 Depth=2
	s_or_b64 exec, exec, s[54:55]
.LBB2_715:                              ;   in Loop: Header=BB2_539 Depth=2
	s_or_b64 exec, exec, s[52:53]
.LBB2_716:                              ;   in Loop: Header=BB2_539 Depth=2
	s_or_b64 exec, exec, s[50:51]
	v_max_f32_e32 v2, v23, v23
	v_max_f32_e32 v3, v3, v3
	;; [unrolled: 1-line block ×3, first 2 shown]
                                        ; implicit-def: $vgpr28
                                        ; implicit-def: $vgpr24
.LBB2_717:                              ;   in Loop: Header=BB2_539 Depth=2
	s_andn2_saveexec_b64 s[18:19], s[48:49]
	s_cbranch_execz .LBB2_735
; %bb.718:                              ;   in Loop: Header=BB2_539 Depth=2
	v_mov_b32_e32 v23, 0
	v_mov_b32_e32 v3, 0
	s_and_saveexec_b64 s[48:49], vcc
	s_cbranch_execz .LBB2_726
; %bb.719:                              ;   in Loop: Header=BB2_539 Depth=2
	v_cmp_ne_u32_e32 vcc, s68, v24
	v_bfrev_b32_e32 v3, 1
	s_and_saveexec_b64 s[50:51], vcc
	s_cbranch_execz .LBB2_725
; %bb.720:                              ;   in Loop: Header=BB2_539 Depth=2
	v_and_b32_e32 v3, 0x7c000000, v2
	v_bfe_u32 v25, v2, 24, 2
	v_cmp_ne_u32_e32 vcc, s72, v3
                                        ; implicit-def: $vgpr3
	s_and_saveexec_b64 s[52:53], vcc
	s_xor_b64 s[52:53], exec, s[52:53]
	s_cbranch_execz .LBB2_722
; %bb.721:                              ;   in Loop: Header=BB2_539 Depth=2
	v_ffbh_u32_e32 v27, v25
	v_min_u32_e32 v27, 32, v27
	v_bfe_u32 v3, v2, 26, 5
	v_subrev_u32_e32 v29, 29, v27
	v_lshlrev_b64 v[36:37], v29, v[24:25]
	v_sub_u32_e32 v24, 30, v27
	v_cmp_eq_u32_e32 vcc, 0, v3
	v_cndmask_b32_e32 v3, v3, v24, vcc
	v_and_b32_e32 v27, 3, v36
	v_lshl_add_u32 v3, v3, 23, v47
	v_cndmask_b32_e32 v24, v25, v27, vcc
	v_and_or_b32 v2, v2, s67, v3
	v_lshl_or_b32 v3, v24, 21, v2
                                        ; implicit-def: $vgpr25
.LBB2_722:                              ;   in Loop: Header=BB2_539 Depth=2
	s_andn2_saveexec_b64 s[52:53], s[52:53]
; %bb.723:                              ;   in Loop: Header=BB2_539 Depth=2
	v_cmp_lt_i32_e32 vcc, -1, v2
	v_cndmask_b32_e32 v2, v7, v10, vcc
	v_cmp_eq_u32_e32 vcc, 0, v25
	v_cndmask_b32_e32 v3, v11, v2, vcc
; %bb.724:                              ;   in Loop: Header=BB2_539 Depth=2
	s_or_b64 exec, exec, s[52:53]
.LBB2_725:                              ;   in Loop: Header=BB2_539 Depth=2
	s_or_b64 exec, exec, s[50:51]
.LBB2_726:                              ;   in Loop: Header=BB2_539 Depth=2
	s_or_b64 exec, exec, s[48:49]
	v_cmp_lt_u32_e32 vcc, s39, v54
	s_and_saveexec_b64 s[48:49], vcc
	s_cbranch_execz .LBB2_734
; %bb.727:                              ;   in Loop: Header=BB2_539 Depth=2
	v_cmp_ne_u32_e32 vcc, s68, v28
	v_bfrev_b32_e32 v23, 1
	s_and_saveexec_b64 s[50:51], vcc
	s_cbranch_execz .LBB2_733
; %bb.728:                              ;   in Loop: Header=BB2_539 Depth=2
	v_and_b32_e32 v23, 0x7c000000, v54
	v_bfe_u32 v2, v54, 24, 2
	v_cmp_ne_u32_e32 vcc, s72, v23
                                        ; implicit-def: $vgpr23
	s_and_saveexec_b64 s[52:53], vcc
	s_xor_b64 s[52:53], exec, s[52:53]
	s_cbranch_execz .LBB2_730
; %bb.729:                              ;   in Loop: Header=BB2_539 Depth=2
	v_ffbh_u32_e32 v24, v2
	v_min_u32_e32 v27, 32, v24
	v_subrev_u32_e32 v24, 29, v27
	v_bfe_u32 v23, v54, 26, 5
	v_lshlrev_b64 v[24:25], v24, v[28:29]
	v_sub_u32_e32 v25, 30, v27
	v_cmp_eq_u32_e32 vcc, 0, v23
	v_cndmask_b32_e32 v23, v23, v25, vcc
	v_and_b32_e32 v24, 3, v24
	v_lshl_add_u32 v23, v23, 23, v47
	v_cndmask_b32_e32 v2, v2, v24, vcc
	v_and_or_b32 v23, v54, s67, v23
	v_lshl_or_b32 v23, v2, 21, v23
                                        ; implicit-def: $vgpr2
.LBB2_730:                              ;   in Loop: Header=BB2_539 Depth=2
	s_andn2_saveexec_b64 s[52:53], s[52:53]
; %bb.731:                              ;   in Loop: Header=BB2_539 Depth=2
	v_cmp_lt_i32_e32 vcc, -1, v54
	v_cndmask_b32_e32 v23, v7, v10, vcc
	v_cmp_eq_u32_e32 vcc, 0, v2
	v_cndmask_b32_e32 v23, v11, v23, vcc
; %bb.732:                              ;   in Loop: Header=BB2_539 Depth=2
	s_or_b64 exec, exec, s[52:53]
.LBB2_733:                              ;   in Loop: Header=BB2_539 Depth=2
	s_or_b64 exec, exec, s[50:51]
.LBB2_734:                              ;   in Loop: Header=BB2_539 Depth=2
	s_or_b64 exec, exec, s[48:49]
	v_max_f32_e32 v2, v23, v23
	v_max_f32_e32 v3, v3, v3
	v_min_f32_e32 v3, v3, v2
.LBB2_735:                              ;   in Loop: Header=BB2_539 Depth=2
	s_or_b64 exec, exec, s[18:19]
	v_and_b32_sdwa v23, v3, s68 dst_sel:DWORD dst_unused:UNUSED_PAD src0_sel:BYTE_3 src1_sel:DWORD
	v_and_b32_e32 v24, 0x7f800000, v3
	v_mov_b32_e32 v25, v55
	v_and_b32_e32 v54, 0x7fffff, v3
	v_or_b32_e32 v27, 0x7b, v23
	v_cmp_ne_u64_e32 vcc, s[40:41], v[24:25]
	s_and_saveexec_b64 s[18:19], vcc
	s_xor_b64 s[48:49], exec, s[18:19]
	s_cbranch_execz .LBB2_745
; %bb.736:                              ;   in Loop: Header=BB2_539 Depth=2
	v_and_b32_e32 v24, 0x7fffffff, v3
	v_mov_b32_e32 v25, v55
	v_cmp_gt_u64_e32 vcc, s[42:43], v[24:25]
	s_and_saveexec_b64 s[50:51], vcc
	s_cbranch_execz .LBB2_744
; %bb.737:                              ;   in Loop: Header=BB2_539 Depth=2
	v_cmp_ne_u32_e32 vcc, 0, v3
	v_mov_b32_e32 v27, 0
	s_and_saveexec_b64 s[52:53], vcc
	s_cbranch_execz .LBB2_743
; %bb.738:                              ;   in Loop: Header=BB2_539 Depth=2
	v_bfe_u32 v2, v3, 23, 8
	v_sub_u32_e32 v24, 0x71, v2
	v_cmp_gt_u32_e32 vcc, s69, v2
	v_cndmask_b32_e32 v24, 0, v24, vcc
	v_cmp_eq_u32_e32 vcc, 0, v2
	v_or_b32_e32 v25, 0x800000, v54
	v_cndmask_b32_e32 v24, v24, v48, vcc
	v_add_u32_e32 v3, 0xffffff81, v2
	v_cndmask_b32_e32 v54, v25, v54, vcc
	v_add_u32_e32 v2, 21, v24
	v_cndmask_b32_e32 v27, v3, v30, vcc
	v_lshlrev_b64 v[2:3], v2, -1
	v_add_u32_e32 v25, 20, v24
	v_lshrrev_b64 v[36:37], v24, v[54:55]
	v_not_b32_e32 v3, v3
	v_not_b32_e32 v2, v2
	v_lshlrev_b64 v[28:29], v25, 1
	v_lshrrev_b32_e32 v25, 23, v36
	v_and_b32_e32 v3, 0, v3
	v_and_b32_e32 v2, v54, v2
	v_add3_u32 v27, v24, v27, v25
	v_bfe_u32 v24, v36, 21, 1
	v_add_u32_e32 v24, -1, v24
	v_cmp_eq_u64_e32 vcc, v[2:3], v[28:29]
	v_cndmask_b32_e32 v2, 0, v24, vcc
	v_add_u32_e32 v2, v2, v36
	v_and_b32_e32 v2, 0x1fffff, v2
	v_add_co_u32_e32 v2, vcc, v2, v36
	v_add_u32_e32 v25, 14, v27
	v_addc_co_u32_e32 v3, vcc, 0, v37, vcc
	v_cmp_ne_u32_e32 vcc, 0, v25
                                        ; implicit-def: $vgpr24
	s_and_saveexec_b64 s[18:19], vcc
	s_xor_b64 s[18:19], exec, s[18:19]
; %bb.739:                              ;   in Loop: Header=BB2_539 Depth=2
	v_add_u32_e32 v24, 15, v27
	v_cmp_lt_u64_e32 vcc, s[44:45], v[2:3]
	v_cndmask_b32_e32 v24, v25, v24, vcc
	v_cndmask_b32_e64 v25, 0, 1, vcc
	v_lshrrev_b64 v[2:3], v25, v[2:3]
; %bb.740:                              ;   in Loop: Header=BB2_539 Depth=2
	s_andn2_saveexec_b64 s[18:19], s[18:19]
; %bb.741:                              ;   in Loop: Header=BB2_539 Depth=2
	v_bfe_u32 v24, v2, 23, 1
; %bb.742:                              ;   in Loop: Header=BB2_539 Depth=2
	s_or_b64 exec, exec, s[18:19]
	v_lshrrev_b64 v[2:3], 21, v[2:3]
	v_cmp_gt_i32_e32 vcc, 32, v24
	v_cndmask_b32_e32 v3, 0, v3, vcc
	v_cndmask_b32_e32 v2, 3, v2, vcc
	v_cmp_eq_u64_e64 s[18:19], 0, v[2:3]
	v_min_i32_e32 v3, 31, v24
	v_cmp_eq_u32_e32 vcc, 0, v24
	v_lshlrev_b32_e32 v3, 2, v3
	v_and_or_b32 v2, v2, 3, v3
	s_and_b64 s[18:19], vcc, s[18:19]
	v_cndmask_b32_e64 v2, v2, 0, s[18:19]
	v_or_b32_e32 v27, v2, v23
.LBB2_743:                              ;   in Loop: Header=BB2_539 Depth=2
	s_or_b64 exec, exec, s[52:53]
.LBB2_744:                              ;   in Loop: Header=BB2_539 Depth=2
	s_or_b64 exec, exec, s[50:51]
                                        ; implicit-def: $vgpr3
.LBB2_745:                              ;   in Loop: Header=BB2_539 Depth=2
	s_andn2_saveexec_b64 s[18:19], s[48:49]
; %bb.746:                              ;   in Loop: Header=BB2_539 Depth=2
	v_or_b32_sdwa v2, v3, s70 dst_sel:DWORD dst_unused:UNUSED_PAD src0_sel:BYTE_3 src1_sel:DWORD
	v_cmp_eq_u64_e32 vcc, 0, v[54:55]
	v_cndmask_b32_e32 v27, v2, v27, vcc
; %bb.747:                              ;   in Loop: Header=BB2_539 Depth=2
	s_or_b64 exec, exec, s[18:19]
	v_alignbit_b32 v54, v32, v33, v22
	v_cmp_ne_u16_sdwa s[18:19], v4, v55 src0_sel:BYTE_0 src1_sel:DWORD
                                        ; implicit-def: $vgpr23
	s_and_saveexec_b64 vcc, s[14:15]
	s_xor_b64 s[48:49], exec, vcc
	s_cbranch_execz .LBB2_765
; %bb.748:                              ;   in Loop: Header=BB2_539 Depth=2
	v_mov_b32_e32 v3, 0
	v_mov_b32_e32 v2, 0
	s_and_saveexec_b64 s[50:51], s[18:19]
	s_cbranch_execz .LBB2_756
; %bb.749:                              ;   in Loop: Header=BB2_539 Depth=2
	v_cmp_ne_u16_sdwa vcc, sext(v4), s65 src0_sel:BYTE_0 src1_sel:DWORD
	v_bfrev_b32_e32 v2, 1
	s_and_saveexec_b64 s[52:53], vcc
	s_cbranch_execz .LBB2_755
; %bb.750:                              ;   in Loop: Header=BB2_539 Depth=2
	v_and_b32_e32 v2, 0x7c, v4
	v_and_b32_e32 v22, 3, v4
	v_cmp_ne_u32_e32 vcc, s66, v2
                                        ; implicit-def: $vgpr2
	s_and_saveexec_b64 s[54:55], vcc
	s_xor_b64 s[54:55], exec, s[54:55]
	s_cbranch_execz .LBB2_752
; %bb.751:                              ;   in Loop: Header=BB2_539 Depth=2
	v_ffbh_u32_e32 v23, v22
	v_bfe_u32 v2, v4, 2, 5
	v_min_u32_e32 v23, 32, v23
	v_subrev_u32_e32 v24, 29, v23
	v_sub_u32_e32 v23, 30, v23
	v_cmp_eq_u32_e32 vcc, 0, v2
	v_lshlrev_b64 v[24:25], v24, v[4:5]
	v_cndmask_b32_e32 v2, v2, v23, vcc
	v_and_b32_e32 v24, 3, v24
	v_lshlrev_b32_e32 v23, 24, v4
	v_lshl_add_u32 v2, v2, 23, v47
	v_cndmask_b32_e32 v22, v22, v24, vcc
	v_and_or_b32 v2, v23, s67, v2
	v_lshl_or_b32 v2, v22, 21, v2
                                        ; implicit-def: $vgpr22
.LBB2_752:                              ;   in Loop: Header=BB2_539 Depth=2
	s_andn2_saveexec_b64 s[54:55], s[54:55]
; %bb.753:                              ;   in Loop: Header=BB2_539 Depth=2
	v_cmp_gt_i16_sdwa vcc, sext(v4), v6 src0_sel:BYTE_0 src1_sel:DWORD
	v_cndmask_b32_e32 v2, v7, v10, vcc
	v_cmp_eq_u32_e32 vcc, 0, v22
	v_cndmask_b32_e32 v2, v11, v2, vcc
; %bb.754:                              ;   in Loop: Header=BB2_539 Depth=2
	s_or_b64 exec, exec, s[54:55]
.LBB2_755:                              ;   in Loop: Header=BB2_539 Depth=2
	s_or_b64 exec, exec, s[52:53]
.LBB2_756:                              ;   in Loop: Header=BB2_539 Depth=2
	s_or_b64 exec, exec, s[50:51]
	v_cmp_ne_u16_sdwa vcc, sext(v54), v55 src0_sel:BYTE_0 src1_sel:DWORD
	s_and_saveexec_b64 s[50:51], vcc
	s_cbranch_execz .LBB2_764
; %bb.757:                              ;   in Loop: Header=BB2_539 Depth=2
	v_cmp_ne_u16_sdwa vcc, sext(v54), s65 src0_sel:BYTE_0 src1_sel:DWORD
	v_bfrev_b32_e32 v3, 1
	s_and_saveexec_b64 s[52:53], vcc
	s_cbranch_execz .LBB2_763
; %bb.758:                              ;   in Loop: Header=BB2_539 Depth=2
	v_and_b32_e32 v3, 0x7c, v54
	v_and_b32_e32 v22, 3, v54
	v_cmp_ne_u32_e32 vcc, s66, v3
                                        ; implicit-def: $vgpr3
	s_and_saveexec_b64 s[54:55], vcc
	s_xor_b64 s[54:55], exec, s[54:55]
	s_cbranch_execz .LBB2_760
; %bb.759:                              ;   in Loop: Header=BB2_539 Depth=2
	v_ffbh_u32_e32 v23, v22
	v_bfe_u32 v3, v54, 2, 5
	v_min_u32_e32 v23, 32, v23
	v_subrev_u32_e32 v24, 29, v23
	v_sub_u32_e32 v23, 30, v23
	v_cmp_eq_u32_e32 vcc, 0, v3
	v_lshlrev_b64 v[24:25], v24, v[54:55]
	v_cndmask_b32_e32 v3, v3, v23, vcc
	v_and_b32_e32 v24, 3, v24
	v_lshlrev_b32_e32 v23, 24, v54
	v_lshl_add_u32 v3, v3, 23, v47
	v_cndmask_b32_e32 v22, v22, v24, vcc
	v_and_or_b32 v3, v23, s67, v3
	v_lshl_or_b32 v3, v22, 21, v3
                                        ; implicit-def: $vgpr22
.LBB2_760:                              ;   in Loop: Header=BB2_539 Depth=2
	s_andn2_saveexec_b64 s[54:55], s[54:55]
; %bb.761:                              ;   in Loop: Header=BB2_539 Depth=2
	v_cmp_gt_i16_sdwa vcc, sext(v54), v6 src0_sel:BYTE_0 src1_sel:DWORD
	v_cndmask_b32_e32 v3, v7, v10, vcc
	v_cmp_eq_u32_e32 vcc, 0, v22
	v_cndmask_b32_e32 v3, v11, v3, vcc
; %bb.762:                              ;   in Loop: Header=BB2_539 Depth=2
	s_or_b64 exec, exec, s[54:55]
.LBB2_763:                              ;   in Loop: Header=BB2_539 Depth=2
	s_or_b64 exec, exec, s[52:53]
.LBB2_764:                              ;   in Loop: Header=BB2_539 Depth=2
	s_or_b64 exec, exec, s[50:51]
	v_max_f32_e32 v3, v3, v3
	v_max_f32_e32 v2, v2, v2
	;; [unrolled: 1-line block ×3, first 2 shown]
.LBB2_765:                              ;   in Loop: Header=BB2_539 Depth=2
	s_andn2_saveexec_b64 s[48:49], s[48:49]
	s_cbranch_execz .LBB2_783
; %bb.766:                              ;   in Loop: Header=BB2_539 Depth=2
	v_mov_b32_e32 v3, 0
	v_mov_b32_e32 v2, 0
	s_and_saveexec_b64 s[50:51], s[18:19]
	s_cbranch_execz .LBB2_774
; %bb.767:                              ;   in Loop: Header=BB2_539 Depth=2
	v_cmp_ne_u16_sdwa vcc, sext(v4), s65 src0_sel:BYTE_0 src1_sel:DWORD
	v_bfrev_b32_e32 v2, 1
	s_and_saveexec_b64 s[18:19], vcc
	s_cbranch_execz .LBB2_773
; %bb.768:                              ;   in Loop: Header=BB2_539 Depth=2
	v_and_b32_e32 v2, 0x7c, v4
	v_and_b32_e32 v22, 3, v4
	v_cmp_ne_u32_e32 vcc, s66, v2
                                        ; implicit-def: $vgpr2
	s_and_saveexec_b64 s[52:53], vcc
	s_xor_b64 s[52:53], exec, s[52:53]
	s_cbranch_execz .LBB2_770
; %bb.769:                              ;   in Loop: Header=BB2_539 Depth=2
	v_ffbh_u32_e32 v23, v22
	v_min_u32_e32 v23, 32, v23
	v_bfe_u32 v2, v4, 2, 5
	v_subrev_u32_e32 v24, 29, v23
	v_lshlrev_b64 v[24:25], v24, v[4:5]
	v_sub_u32_e32 v5, 30, v23
	v_cmp_eq_u32_e32 vcc, 0, v2
	v_and_b32_e32 v23, 3, v24
	v_cndmask_b32_e32 v2, v2, v5, vcc
	v_cndmask_b32_e32 v5, v22, v23, vcc
	v_lshlrev_b32_e32 v22, 24, v4
	v_lshl_add_u32 v2, v2, 23, v47
	v_and_or_b32 v2, v22, s67, v2
	v_lshl_or_b32 v2, v5, 21, v2
                                        ; implicit-def: $vgpr22
.LBB2_770:                              ;   in Loop: Header=BB2_539 Depth=2
	s_andn2_saveexec_b64 s[52:53], s[52:53]
; %bb.771:                              ;   in Loop: Header=BB2_539 Depth=2
	v_cmp_gt_i16_sdwa vcc, sext(v4), v6 src0_sel:BYTE_0 src1_sel:DWORD
	v_cndmask_b32_e32 v2, v7, v10, vcc
	v_cmp_eq_u32_e32 vcc, 0, v22
	v_cndmask_b32_e32 v2, v11, v2, vcc
; %bb.772:                              ;   in Loop: Header=BB2_539 Depth=2
	s_or_b64 exec, exec, s[52:53]
.LBB2_773:                              ;   in Loop: Header=BB2_539 Depth=2
	s_or_b64 exec, exec, s[18:19]
.LBB2_774:                              ;   in Loop: Header=BB2_539 Depth=2
	s_or_b64 exec, exec, s[50:51]
	v_cmp_ne_u16_sdwa vcc, sext(v54), v55 src0_sel:BYTE_0 src1_sel:DWORD
	s_and_saveexec_b64 s[18:19], vcc
	s_cbranch_execz .LBB2_782
; %bb.775:                              ;   in Loop: Header=BB2_539 Depth=2
	v_cmp_ne_u16_sdwa vcc, sext(v54), s65 src0_sel:BYTE_0 src1_sel:DWORD
	v_bfrev_b32_e32 v3, 1
	s_and_saveexec_b64 s[50:51], vcc
	s_cbranch_execz .LBB2_781
; %bb.776:                              ;   in Loop: Header=BB2_539 Depth=2
	v_and_b32_e32 v3, 0x7c, v54
	v_and_b32_e32 v5, 3, v54
	v_cmp_ne_u32_e32 vcc, s66, v3
                                        ; implicit-def: $vgpr3
	s_and_saveexec_b64 s[52:53], vcc
	s_xor_b64 s[52:53], exec, s[52:53]
	s_cbranch_execz .LBB2_778
; %bb.777:                              ;   in Loop: Header=BB2_539 Depth=2
	v_ffbh_u32_e32 v22, v5
	v_min_u32_e32 v24, 32, v22
	v_subrev_u32_e32 v22, 29, v24
	v_bfe_u32 v3, v54, 2, 5
	v_lshlrev_b64 v[22:23], v22, v[54:55]
	v_sub_u32_e32 v23, 30, v24
	v_cmp_eq_u32_e32 vcc, 0, v3
	v_and_b32_e32 v22, 3, v22
	v_cndmask_b32_e32 v3, v3, v23, vcc
	v_cndmask_b32_e32 v5, v5, v22, vcc
	v_lshlrev_b32_e32 v22, 24, v54
	v_lshl_add_u32 v3, v3, 23, v47
	v_and_or_b32 v3, v22, s67, v3
	v_lshl_or_b32 v3, v5, 21, v3
                                        ; implicit-def: $vgpr5
.LBB2_778:                              ;   in Loop: Header=BB2_539 Depth=2
	s_andn2_saveexec_b64 s[52:53], s[52:53]
; %bb.779:                              ;   in Loop: Header=BB2_539 Depth=2
	v_cmp_gt_i16_sdwa vcc, sext(v54), v6 src0_sel:BYTE_0 src1_sel:DWORD
	v_cndmask_b32_e32 v3, v7, v10, vcc
	v_cmp_eq_u32_e32 vcc, 0, v5
	v_cndmask_b32_e32 v3, v11, v3, vcc
; %bb.780:                              ;   in Loop: Header=BB2_539 Depth=2
	s_or_b64 exec, exec, s[52:53]
.LBB2_781:                              ;   in Loop: Header=BB2_539 Depth=2
	s_or_b64 exec, exec, s[50:51]
.LBB2_782:                              ;   in Loop: Header=BB2_539 Depth=2
	s_or_b64 exec, exec, s[18:19]
	v_max_f32_e32 v3, v3, v3
	v_max_f32_e32 v2, v2, v2
	v_min_f32_e32 v23, v2, v3
.LBB2_783:                              ;   in Loop: Header=BB2_539 Depth=2
	s_or_b64 exec, exec, s[48:49]
	v_and_b32_sdwa v5, v23, s68 dst_sel:DWORD dst_unused:UNUSED_PAD src0_sel:BYTE_3 src1_sel:DWORD
	v_and_b32_e32 v24, 0x7f800000, v23
	v_mov_b32_e32 v25, v55
	v_and_b32_e32 v2, 0x7fffff, v23
	v_mov_b32_e32 v3, v55
	v_or_b32_e32 v22, 0x7b, v5
	v_cmp_ne_u64_e32 vcc, s[40:41], v[24:25]
	s_and_saveexec_b64 s[18:19], vcc
	s_xor_b64 s[48:49], exec, s[18:19]
	s_cbranch_execz .LBB2_793
; %bb.784:                              ;   in Loop: Header=BB2_539 Depth=2
	v_and_b32_e32 v24, 0x7fffffff, v23
	v_mov_b32_e32 v25, v55
	v_cmp_gt_u64_e32 vcc, s[42:43], v[24:25]
	s_and_saveexec_b64 s[50:51], vcc
	s_cbranch_execz .LBB2_792
; %bb.785:                              ;   in Loop: Header=BB2_539 Depth=2
	v_cmp_ne_u32_e32 vcc, 0, v23
	v_mov_b32_e32 v22, 0
	s_and_saveexec_b64 s[52:53], vcc
	s_cbranch_execz .LBB2_791
; %bb.786:                              ;   in Loop: Header=BB2_539 Depth=2
	v_bfe_u32 v22, v23, 23, 8
	v_sub_u32_e32 v24, 0x71, v22
	v_cmp_gt_u32_e32 vcc, s69, v22
	v_cndmask_b32_e32 v24, 0, v24, vcc
	v_cmp_eq_u32_e32 vcc, 0, v22
	v_cndmask_b32_e32 v24, v24, v48, vcc
	v_add_u32_e32 v23, 0xffffff81, v22
	v_add_u32_e32 v22, 21, v24
	v_or_b32_e32 v25, 0x800000, v2
	v_cndmask_b32_e32 v36, v23, v30, vcc
	v_lshlrev_b64 v[22:23], v22, -1
	v_cndmask_b32_e32 v2, v25, v2, vcc
	v_not_b32_e32 v22, v22
	v_and_b32_e32 v28, v2, v22
	v_add_u32_e32 v22, 20, v24
	v_lshrrev_b64 v[2:3], v24, v[2:3]
	v_not_b32_e32 v23, v23
	v_lshlrev_b64 v[32:33], v22, 1
	v_lshrrev_b32_e32 v22, 23, v2
	v_and_b32_e32 v29, 0, v23
	v_add3_u32 v24, v24, v36, v22
	v_bfe_u32 v22, v2, 21, 1
	v_add_u32_e32 v22, -1, v22
	v_cmp_eq_u64_e32 vcc, v[28:29], v[32:33]
	v_cndmask_b32_e32 v22, 0, v22, vcc
	v_add_u32_e32 v22, v22, v2
	v_and_b32_e32 v22, 0x1fffff, v22
	v_add_co_u32_e32 v2, vcc, v22, v2
	v_add_u32_e32 v23, 14, v24
	v_addc_co_u32_e32 v3, vcc, 0, v3, vcc
	v_cmp_ne_u32_e32 vcc, 0, v23
                                        ; implicit-def: $vgpr22
	s_and_saveexec_b64 s[18:19], vcc
	s_xor_b64 s[18:19], exec, s[18:19]
; %bb.787:                              ;   in Loop: Header=BB2_539 Depth=2
	v_add_u32_e32 v22, 15, v24
	v_cmp_lt_u64_e32 vcc, s[44:45], v[2:3]
	v_cndmask_b32_e32 v22, v23, v22, vcc
	v_cndmask_b32_e64 v23, 0, 1, vcc
	v_lshrrev_b64 v[2:3], v23, v[2:3]
; %bb.788:                              ;   in Loop: Header=BB2_539 Depth=2
	s_andn2_saveexec_b64 s[18:19], s[18:19]
; %bb.789:                              ;   in Loop: Header=BB2_539 Depth=2
	v_bfe_u32 v22, v2, 23, 1
; %bb.790:                              ;   in Loop: Header=BB2_539 Depth=2
	s_or_b64 exec, exec, s[18:19]
	v_lshrrev_b64 v[2:3], 21, v[2:3]
	v_cmp_gt_i32_e32 vcc, 32, v22
	v_cndmask_b32_e32 v3, 0, v3, vcc
	v_cndmask_b32_e32 v2, 3, v2, vcc
	v_cmp_eq_u64_e64 s[18:19], 0, v[2:3]
	v_min_i32_e32 v3, 31, v22
	v_cmp_eq_u32_e32 vcc, 0, v22
	v_lshlrev_b32_e32 v3, 2, v3
	v_and_or_b32 v2, v2, 3, v3
	s_and_b64 s[18:19], vcc, s[18:19]
	v_cndmask_b32_e64 v2, v2, 0, s[18:19]
	v_or_b32_e32 v22, v2, v5
.LBB2_791:                              ;   in Loop: Header=BB2_539 Depth=2
	s_or_b64 exec, exec, s[52:53]
.LBB2_792:                              ;   in Loop: Header=BB2_539 Depth=2
	s_or_b64 exec, exec, s[50:51]
                                        ; implicit-def: $vgpr23
                                        ; implicit-def: $vgpr2_vgpr3
.LBB2_793:                              ;   in Loop: Header=BB2_539 Depth=2
	s_andn2_saveexec_b64 s[18:19], s[48:49]
; %bb.794:                              ;   in Loop: Header=BB2_539 Depth=2
	v_or_b32_sdwa v5, v23, s70 dst_sel:DWORD dst_unused:UNUSED_PAD src0_sel:BYTE_3 src1_sel:DWORD
	v_cmp_eq_u64_e32 vcc, 0, v[2:3]
	v_cndmask_b32_e32 v22, v5, v22, vcc
; %bb.795:                              ;   in Loop: Header=BB2_539 Depth=2
	s_or_b64 exec, exec, s[18:19]
	v_lshrrev_b16_e32 v24, 8, v4
	v_lshrrev_b16_e32 v2, 8, v54
	v_cmp_ne_u16_e32 vcc, 0, v24
                                        ; implicit-def: $vgpr25
	s_and_saveexec_b64 s[18:19], s[14:15]
	s_xor_b64 s[48:49], exec, s[18:19]
	s_cbranch_execz .LBB2_813
; %bb.796:                              ;   in Loop: Header=BB2_539 Depth=2
	v_mov_b32_e32 v3, 0
	v_mov_b32_e32 v5, 0
	s_and_saveexec_b64 s[50:51], vcc
	s_cbranch_execz .LBB2_804
; %bb.797:                              ;   in Loop: Header=BB2_539 Depth=2
	v_cmp_ne_u16_e64 s[18:19], s68, v24
	v_bfrev_b32_e32 v5, 1
	s_and_saveexec_b64 s[52:53], s[18:19]
	s_cbranch_execz .LBB2_803
; %bb.798:                              ;   in Loop: Header=BB2_539 Depth=2
	v_and_b32_e32 v5, 0x7c, v24
	v_and_b32_e32 v23, 3, v24
	v_cmp_ne_u32_e64 s[18:19], s66, v5
                                        ; implicit-def: $vgpr5
	s_and_saveexec_b64 s[54:55], s[18:19]
	s_xor_b64 s[54:55], exec, s[54:55]
	s_cbranch_execz .LBB2_800
; %bb.799:                              ;   in Loop: Header=BB2_539 Depth=2
	v_ffbh_u32_e32 v28, v23
	v_min_u32_e32 v28, 32, v28
	v_mov_b32_e32 v25, v55
	v_subrev_u32_e32 v29, 29, v28
	v_bfe_u32 v5, v24, 2, 5
	v_lshlrev_b64 v[24:25], v29, v[24:25]
	v_sub_u32_e32 v25, 30, v28
	v_cmp_eq_u32_e64 s[18:19], 0, v5
	v_and_b32_e32 v24, 3, v24
	v_cndmask_b32_e64 v5, v5, v25, s[18:19]
	v_cndmask_b32_e64 v23, v23, v24, s[18:19]
	v_lshlrev_b32_e32 v24, 16, v4
	v_lshl_add_u32 v5, v5, 23, v47
	v_and_or_b32 v5, v24, s67, v5
	v_lshl_or_b32 v5, v23, 21, v5
                                        ; implicit-def: $vgpr23
.LBB2_800:                              ;   in Loop: Header=BB2_539 Depth=2
	s_andn2_saveexec_b64 s[54:55], s[54:55]
; %bb.801:                              ;   in Loop: Header=BB2_539 Depth=2
	v_cmp_lt_i16_e64 s[18:19], -1, v4
	v_cndmask_b32_e64 v5, v7, v10, s[18:19]
	v_cmp_eq_u32_e64 s[18:19], 0, v23
	v_cndmask_b32_e64 v5, v11, v5, s[18:19]
; %bb.802:                              ;   in Loop: Header=BB2_539 Depth=2
	s_or_b64 exec, exec, s[54:55]
.LBB2_803:                              ;   in Loop: Header=BB2_539 Depth=2
	s_or_b64 exec, exec, s[52:53]
.LBB2_804:                              ;   in Loop: Header=BB2_539 Depth=2
	s_or_b64 exec, exec, s[50:51]
	v_cmp_ne_u16_e64 s[18:19], 0, v2
	s_and_saveexec_b64 s[50:51], s[18:19]
	s_cbranch_execz .LBB2_812
; %bb.805:                              ;   in Loop: Header=BB2_539 Depth=2
	v_cmp_ne_u16_e64 s[18:19], s68, v2
	v_bfrev_b32_e32 v3, 1
	s_and_saveexec_b64 s[52:53], s[18:19]
	s_cbranch_execz .LBB2_811
; %bb.806:                              ;   in Loop: Header=BB2_539 Depth=2
	v_and_b32_e32 v3, 0x7c, v2
	v_and_b32_e32 v23, 3, v2
	v_cmp_ne_u32_e64 s[18:19], s66, v3
                                        ; implicit-def: $vgpr3
	s_and_saveexec_b64 s[54:55], s[18:19]
	s_xor_b64 s[54:55], exec, s[54:55]
	s_cbranch_execz .LBB2_808
; %bb.807:                              ;   in Loop: Header=BB2_539 Depth=2
	v_ffbh_u32_e32 v25, v23
	v_min_u32_e32 v25, 32, v25
	v_mov_b32_e32 v3, v55
	v_subrev_u32_e32 v28, 29, v25
	v_bfe_u32 v24, v2, 2, 5
	v_lshlrev_b64 v[2:3], v28, v[2:3]
	v_sub_u32_e32 v3, 30, v25
	v_cmp_eq_u32_e64 s[18:19], 0, v24
	v_and_b32_e32 v2, 3, v2
	v_cndmask_b32_e64 v3, v24, v3, s[18:19]
	v_cndmask_b32_e64 v2, v23, v2, s[18:19]
	v_lshlrev_b32_e32 v23, 16, v54
	v_lshl_add_u32 v3, v3, 23, v47
	v_and_or_b32 v3, v23, s67, v3
	v_lshl_or_b32 v3, v2, 21, v3
                                        ; implicit-def: $vgpr23
.LBB2_808:                              ;   in Loop: Header=BB2_539 Depth=2
	s_andn2_saveexec_b64 s[54:55], s[54:55]
; %bb.809:                              ;   in Loop: Header=BB2_539 Depth=2
	v_cmp_lt_i16_e64 s[18:19], -1, v54
	v_cndmask_b32_e64 v2, v7, v10, s[18:19]
	v_cmp_eq_u32_e64 s[18:19], 0, v23
	v_cndmask_b32_e64 v3, v11, v2, s[18:19]
; %bb.810:                              ;   in Loop: Header=BB2_539 Depth=2
	s_or_b64 exec, exec, s[54:55]
.LBB2_811:                              ;   in Loop: Header=BB2_539 Depth=2
	s_or_b64 exec, exec, s[52:53]
.LBB2_812:                              ;   in Loop: Header=BB2_539 Depth=2
	s_or_b64 exec, exec, s[50:51]
	v_max_f32_e32 v2, v3, v3
	v_max_f32_e32 v3, v5, v5
	;; [unrolled: 1-line block ×3, first 2 shown]
                                        ; implicit-def: $vgpr2
                                        ; implicit-def: $vgpr24
.LBB2_813:                              ;   in Loop: Header=BB2_539 Depth=2
	s_andn2_saveexec_b64 s[18:19], s[48:49]
	s_cbranch_execz .LBB2_831
; %bb.814:                              ;   in Loop: Header=BB2_539 Depth=2
	v_mov_b32_e32 v3, 0
	v_mov_b32_e32 v5, 0
	s_and_saveexec_b64 s[48:49], vcc
	s_cbranch_execz .LBB2_822
; %bb.815:                              ;   in Loop: Header=BB2_539 Depth=2
	v_cmp_ne_u16_e32 vcc, s68, v24
	v_bfrev_b32_e32 v5, 1
	s_and_saveexec_b64 s[50:51], vcc
	s_cbranch_execz .LBB2_821
; %bb.816:                              ;   in Loop: Header=BB2_539 Depth=2
	v_and_b32_e32 v5, 0x7c, v24
	v_and_b32_e32 v23, 3, v24
	v_cmp_ne_u32_e32 vcc, s66, v5
                                        ; implicit-def: $vgpr5
	s_and_saveexec_b64 s[52:53], vcc
	s_xor_b64 s[52:53], exec, s[52:53]
	s_cbranch_execz .LBB2_818
; %bb.817:                              ;   in Loop: Header=BB2_539 Depth=2
	v_ffbh_u32_e32 v28, v23
	v_min_u32_e32 v28, 32, v28
	v_mov_b32_e32 v25, v55
	v_subrev_u32_e32 v29, 29, v28
	v_bfe_u32 v5, v24, 2, 5
	v_lshlrev_b64 v[24:25], v29, v[24:25]
	v_sub_u32_e32 v25, 30, v28
	v_cmp_eq_u32_e32 vcc, 0, v5
	v_and_b32_e32 v24, 3, v24
	v_cndmask_b32_e32 v5, v5, v25, vcc
	v_cndmask_b32_e32 v23, v23, v24, vcc
	v_lshlrev_b32_e32 v24, 16, v4
	v_lshl_add_u32 v5, v5, 23, v47
	v_and_or_b32 v5, v24, s67, v5
	v_lshl_or_b32 v5, v23, 21, v5
                                        ; implicit-def: $vgpr23
.LBB2_818:                              ;   in Loop: Header=BB2_539 Depth=2
	s_andn2_saveexec_b64 s[52:53], s[52:53]
; %bb.819:                              ;   in Loop: Header=BB2_539 Depth=2
	v_cmp_lt_i16_e32 vcc, -1, v4
	v_cndmask_b32_e32 v5, v7, v10, vcc
	v_cmp_eq_u32_e32 vcc, 0, v23
	v_cndmask_b32_e32 v5, v11, v5, vcc
; %bb.820:                              ;   in Loop: Header=BB2_539 Depth=2
	s_or_b64 exec, exec, s[52:53]
.LBB2_821:                              ;   in Loop: Header=BB2_539 Depth=2
	s_or_b64 exec, exec, s[50:51]
.LBB2_822:                              ;   in Loop: Header=BB2_539 Depth=2
	s_or_b64 exec, exec, s[48:49]
	v_cmp_ne_u16_e32 vcc, 0, v2
	s_and_saveexec_b64 s[48:49], vcc
	s_cbranch_execz .LBB2_830
; %bb.823:                              ;   in Loop: Header=BB2_539 Depth=2
	v_cmp_ne_u16_e32 vcc, s68, v2
	v_bfrev_b32_e32 v3, 1
	s_and_saveexec_b64 s[50:51], vcc
	s_cbranch_execz .LBB2_829
; %bb.824:                              ;   in Loop: Header=BB2_539 Depth=2
	v_and_b32_e32 v3, 0x7c, v2
	v_and_b32_e32 v23, 3, v2
	v_cmp_ne_u32_e32 vcc, s66, v3
                                        ; implicit-def: $vgpr3
	s_and_saveexec_b64 s[52:53], vcc
	s_xor_b64 s[52:53], exec, s[52:53]
	s_cbranch_execz .LBB2_826
; %bb.825:                              ;   in Loop: Header=BB2_539 Depth=2
	v_ffbh_u32_e32 v25, v23
	v_min_u32_e32 v25, 32, v25
	v_mov_b32_e32 v3, v55
	v_subrev_u32_e32 v28, 29, v25
	v_bfe_u32 v24, v2, 2, 5
	v_lshlrev_b64 v[2:3], v28, v[2:3]
	v_sub_u32_e32 v3, 30, v25
	v_cmp_eq_u32_e32 vcc, 0, v24
	v_and_b32_e32 v2, 3, v2
	v_cndmask_b32_e32 v3, v24, v3, vcc
	v_cndmask_b32_e32 v2, v23, v2, vcc
	v_lshlrev_b32_e32 v23, 16, v54
	v_lshl_add_u32 v3, v3, 23, v47
	v_and_or_b32 v3, v23, s67, v3
	v_lshl_or_b32 v3, v2, 21, v3
                                        ; implicit-def: $vgpr23
.LBB2_826:                              ;   in Loop: Header=BB2_539 Depth=2
	s_andn2_saveexec_b64 s[52:53], s[52:53]
; %bb.827:                              ;   in Loop: Header=BB2_539 Depth=2
	v_cmp_lt_i16_e32 vcc, -1, v54
	v_cndmask_b32_e32 v2, v7, v10, vcc
	v_cmp_eq_u32_e32 vcc, 0, v23
	v_cndmask_b32_e32 v3, v11, v2, vcc
; %bb.828:                              ;   in Loop: Header=BB2_539 Depth=2
	s_or_b64 exec, exec, s[52:53]
.LBB2_829:                              ;   in Loop: Header=BB2_539 Depth=2
	s_or_b64 exec, exec, s[50:51]
.LBB2_830:                              ;   in Loop: Header=BB2_539 Depth=2
	s_or_b64 exec, exec, s[48:49]
	v_max_f32_e32 v2, v3, v3
	v_max_f32_e32 v3, v5, v5
	v_min_f32_e32 v25, v3, v2
.LBB2_831:                              ;   in Loop: Header=BB2_539 Depth=2
	s_or_b64 exec, exec, s[18:19]
	v_and_b32_sdwa v5, v25, s68 dst_sel:DWORD dst_unused:UNUSED_PAD src0_sel:BYTE_3 src1_sel:DWORD
	v_and_b32_e32 v28, 0x7f800000, v25
	v_mov_b32_e32 v29, v55
	v_and_b32_e32 v2, 0x7fffff, v25
	v_mov_b32_e32 v3, v55
	v_or_b32_e32 v23, 0x7b, v5
	v_cmp_ne_u64_e32 vcc, s[40:41], v[28:29]
	s_and_saveexec_b64 s[18:19], vcc
	s_xor_b64 s[48:49], exec, s[18:19]
	s_cbranch_execz .LBB2_841
; %bb.832:                              ;   in Loop: Header=BB2_539 Depth=2
	v_and_b32_e32 v28, 0x7fffffff, v25
	v_mov_b32_e32 v29, v55
	v_cmp_gt_u64_e32 vcc, s[42:43], v[28:29]
	s_and_saveexec_b64 s[50:51], vcc
	s_cbranch_execz .LBB2_840
; %bb.833:                              ;   in Loop: Header=BB2_539 Depth=2
	v_cmp_ne_u32_e32 vcc, 0, v25
	v_mov_b32_e32 v23, 0
	s_and_saveexec_b64 s[52:53], vcc
	s_cbranch_execz .LBB2_839
; %bb.834:                              ;   in Loop: Header=BB2_539 Depth=2
	v_bfe_u32 v23, v25, 23, 8
	v_sub_u32_e32 v25, 0x71, v23
	v_cmp_gt_u32_e32 vcc, s69, v23
	v_cndmask_b32_e32 v25, 0, v25, vcc
	v_cmp_eq_u32_e32 vcc, 0, v23
	v_add_u32_e32 v24, 0xffffff81, v23
	v_cndmask_b32_e32 v36, v25, v48, vcc
	v_cndmask_b32_e32 v23, v24, v30, vcc
	v_add_u32_e32 v24, 21, v36
	v_or_b32_e32 v28, 0x800000, v2
	v_lshlrev_b64 v[24:25], v24, -1
	v_cndmask_b32_e32 v2, v28, v2, vcc
	v_not_b32_e32 v24, v24
	v_and_b32_e32 v28, v2, v24
	v_add_u32_e32 v24, 20, v36
	v_lshrrev_b64 v[2:3], v36, v[2:3]
	v_not_b32_e32 v25, v25
	v_lshlrev_b64 v[32:33], v24, 1
	v_lshrrev_b32_e32 v24, 23, v2
	v_and_b32_e32 v29, 0, v25
	v_add3_u32 v25, v36, v23, v24
	v_bfe_u32 v23, v2, 21, 1
	v_add_u32_e32 v23, -1, v23
	v_cmp_eq_u64_e32 vcc, v[28:29], v[32:33]
	v_cndmask_b32_e32 v23, 0, v23, vcc
	v_add_u32_e32 v23, v23, v2
	v_and_b32_e32 v23, 0x1fffff, v23
	v_add_co_u32_e32 v2, vcc, v23, v2
	v_add_u32_e32 v24, 14, v25
	v_addc_co_u32_e32 v3, vcc, 0, v3, vcc
	v_cmp_ne_u32_e32 vcc, 0, v24
                                        ; implicit-def: $vgpr23
	s_and_saveexec_b64 s[18:19], vcc
	s_xor_b64 s[18:19], exec, s[18:19]
; %bb.835:                              ;   in Loop: Header=BB2_539 Depth=2
	v_add_u32_e32 v23, 15, v25
	v_cmp_lt_u64_e32 vcc, s[44:45], v[2:3]
	v_cndmask_b32_e32 v23, v24, v23, vcc
	v_cndmask_b32_e64 v24, 0, 1, vcc
	v_lshrrev_b64 v[2:3], v24, v[2:3]
; %bb.836:                              ;   in Loop: Header=BB2_539 Depth=2
	s_andn2_saveexec_b64 s[18:19], s[18:19]
; %bb.837:                              ;   in Loop: Header=BB2_539 Depth=2
	v_bfe_u32 v23, v2, 23, 1
; %bb.838:                              ;   in Loop: Header=BB2_539 Depth=2
	s_or_b64 exec, exec, s[18:19]
	v_lshrrev_b64 v[2:3], 21, v[2:3]
	v_cmp_gt_i32_e32 vcc, 32, v23
	v_cndmask_b32_e32 v3, 0, v3, vcc
	v_cndmask_b32_e32 v2, 3, v2, vcc
	v_cmp_eq_u64_e64 s[18:19], 0, v[2:3]
	v_min_i32_e32 v3, 31, v23
	v_cmp_eq_u32_e32 vcc, 0, v23
	v_lshlrev_b32_e32 v3, 2, v3
	v_and_or_b32 v2, v2, 3, v3
	s_and_b64 s[18:19], vcc, s[18:19]
	v_cndmask_b32_e64 v2, v2, 0, s[18:19]
	v_or_b32_e32 v23, v2, v5
.LBB2_839:                              ;   in Loop: Header=BB2_539 Depth=2
	s_or_b64 exec, exec, s[52:53]
.LBB2_840:                              ;   in Loop: Header=BB2_539 Depth=2
	s_or_b64 exec, exec, s[50:51]
                                        ; implicit-def: $vgpr25
                                        ; implicit-def: $vgpr2_vgpr3
.LBB2_841:                              ;   in Loop: Header=BB2_539 Depth=2
	s_andn2_saveexec_b64 s[18:19], s[48:49]
; %bb.842:                              ;   in Loop: Header=BB2_539 Depth=2
	v_or_b32_sdwa v5, v25, s70 dst_sel:DWORD dst_unused:UNUSED_PAD src0_sel:BYTE_3 src1_sel:DWORD
	v_cmp_eq_u64_e32 vcc, 0, v[2:3]
	v_cndmask_b32_e32 v23, v5, v23, vcc
; %bb.843:                              ;   in Loop: Header=BB2_539 Depth=2
	s_or_b64 exec, exec, s[18:19]
	v_lshrrev_b32_e32 v28, 16, v4
	v_lshrrev_b32_e32 v2, 16, v54
	v_cmp_ne_u16_sdwa s[18:19], v28, v55 src0_sel:BYTE_0 src1_sel:DWORD
                                        ; implicit-def: $vgpr24
	s_and_saveexec_b64 vcc, s[14:15]
	s_xor_b64 s[48:49], exec, vcc
	s_cbranch_execz .LBB2_861
; %bb.844:                              ;   in Loop: Header=BB2_539 Depth=2
	v_mov_b32_e32 v5, 0
	v_mov_b32_e32 v3, 0
	s_and_saveexec_b64 s[50:51], s[18:19]
	s_cbranch_execz .LBB2_852
; %bb.845:                              ;   in Loop: Header=BB2_539 Depth=2
	v_cmp_ne_u16_sdwa vcc, v28, s68 src0_sel:BYTE_0 src1_sel:DWORD
	v_bfrev_b32_e32 v3, 1
	s_and_saveexec_b64 s[52:53], vcc
	s_cbranch_execz .LBB2_851
; %bb.846:                              ;   in Loop: Header=BB2_539 Depth=2
	v_and_b32_e32 v3, 0x7c0000, v4
	v_bfe_u32 v24, v4, 16, 2
	v_cmp_ne_u32_e32 vcc, s71, v3
                                        ; implicit-def: $vgpr3
	s_and_saveexec_b64 s[54:55], vcc
	s_xor_b64 s[54:55], exec, s[54:55]
	s_cbranch_execz .LBB2_848
; %bb.847:                              ;   in Loop: Header=BB2_539 Depth=2
	v_ffbh_u32_e32 v25, v24
	v_bfe_u32 v3, v4, 18, 5
	v_min_u32_e32 v25, 32, v25
	v_subrev_u32_e32 v29, 29, v25
	v_sub_u32_e32 v25, 30, v25
	v_cmp_eq_u32_e32 vcc, 0, v3
	v_lshlrev_b64 v[32:33], v29, v[28:29]
	v_cndmask_b32_e32 v3, v3, v25, vcc
	v_and_b32_e32 v29, 3, v32
	v_lshlrev_b32_e32 v25, 24, v28
	v_lshl_add_u32 v3, v3, 23, v47
	v_cndmask_b32_e32 v24, v24, v29, vcc
	v_and_or_b32 v3, v25, s67, v3
	v_lshl_or_b32 v3, v24, 21, v3
                                        ; implicit-def: $vgpr24
                                        ; implicit-def: $vgpr28
.LBB2_848:                              ;   in Loop: Header=BB2_539 Depth=2
	s_andn2_saveexec_b64 s[54:55], s[54:55]
; %bb.849:                              ;   in Loop: Header=BB2_539 Depth=2
	v_cmp_gt_i16_sdwa vcc, sext(v28), v6 src0_sel:BYTE_0 src1_sel:DWORD
	v_cndmask_b32_e32 v3, v7, v10, vcc
	v_cmp_eq_u32_e32 vcc, 0, v24
	v_cndmask_b32_e32 v3, v11, v3, vcc
; %bb.850:                              ;   in Loop: Header=BB2_539 Depth=2
	s_or_b64 exec, exec, s[54:55]
.LBB2_851:                              ;   in Loop: Header=BB2_539 Depth=2
	s_or_b64 exec, exec, s[52:53]
.LBB2_852:                              ;   in Loop: Header=BB2_539 Depth=2
	s_or_b64 exec, exec, s[50:51]
	v_and_b32_sdwa v24, v54, s64 dst_sel:DWORD dst_unused:UNUSED_PAD src0_sel:WORD_1 src1_sel:DWORD
	v_cmp_ne_u16_e32 vcc, 0, v24
	s_and_saveexec_b64 s[50:51], vcc
	s_cbranch_execz .LBB2_860
; %bb.853:                              ;   in Loop: Header=BB2_539 Depth=2
	v_cmp_ne_u16_e32 vcc, s68, v24
	v_bfrev_b32_e32 v5, 1
	s_and_saveexec_b64 s[52:53], vcc
	s_cbranch_execz .LBB2_859
; %bb.854:                              ;   in Loop: Header=BB2_539 Depth=2
	v_and_b32_e32 v5, 0x7c0000, v54
	v_bfe_u32 v24, v54, 16, 2
	v_cmp_ne_u32_e32 vcc, s71, v5
                                        ; implicit-def: $vgpr5
	s_and_saveexec_b64 s[54:55], vcc
	s_xor_b64 s[54:55], exec, s[54:55]
	s_cbranch_execz .LBB2_856
; %bb.855:                              ;   in Loop: Header=BB2_539 Depth=2
	v_ffbh_u32_e32 v25, v24
	v_bfe_u32 v5, v54, 18, 5
	v_min_u32_e32 v25, 32, v25
	v_subrev_u32_e32 v28, 29, v25
	v_sub_u32_e32 v25, 30, v25
	v_cmp_eq_u32_e32 vcc, 0, v5
	v_lshlrev_b64 v[28:29], v28, v[2:3]
	v_cndmask_b32_e32 v5, v5, v25, vcc
	v_and_b32_e32 v28, 3, v28
	v_lshlrev_b32_e32 v2, 24, v2
	v_lshl_add_u32 v5, v5, 23, v47
	v_cndmask_b32_e32 v24, v24, v28, vcc
	v_and_or_b32 v2, v2, s67, v5
	v_lshl_or_b32 v5, v24, 21, v2
                                        ; implicit-def: $vgpr24
                                        ; implicit-def: $vgpr2
.LBB2_856:                              ;   in Loop: Header=BB2_539 Depth=2
	s_andn2_saveexec_b64 s[54:55], s[54:55]
; %bb.857:                              ;   in Loop: Header=BB2_539 Depth=2
	v_cmp_gt_i16_sdwa vcc, sext(v2), v6 src0_sel:BYTE_0 src1_sel:DWORD
	v_cndmask_b32_e32 v2, v7, v10, vcc
	v_cmp_eq_u32_e32 vcc, 0, v24
	v_cndmask_b32_e32 v5, v11, v2, vcc
; %bb.858:                              ;   in Loop: Header=BB2_539 Depth=2
	s_or_b64 exec, exec, s[54:55]
.LBB2_859:                              ;   in Loop: Header=BB2_539 Depth=2
	s_or_b64 exec, exec, s[52:53]
.LBB2_860:                              ;   in Loop: Header=BB2_539 Depth=2
	s_or_b64 exec, exec, s[50:51]
	v_max_f32_e32 v2, v5, v5
	v_max_f32_e32 v3, v3, v3
	;; [unrolled: 1-line block ×3, first 2 shown]
                                        ; implicit-def: $vgpr28
                                        ; implicit-def: $vgpr2
.LBB2_861:                              ;   in Loop: Header=BB2_539 Depth=2
	s_andn2_saveexec_b64 s[48:49], s[48:49]
	s_cbranch_execz .LBB2_879
; %bb.862:                              ;   in Loop: Header=BB2_539 Depth=2
	v_mov_b32_e32 v5, 0
	v_mov_b32_e32 v3, 0
	s_and_saveexec_b64 s[50:51], s[18:19]
	s_cbranch_execz .LBB2_870
; %bb.863:                              ;   in Loop: Header=BB2_539 Depth=2
	v_cmp_ne_u16_sdwa vcc, v28, s68 src0_sel:BYTE_0 src1_sel:DWORD
	v_bfrev_b32_e32 v3, 1
	s_and_saveexec_b64 s[18:19], vcc
	s_cbranch_execz .LBB2_869
; %bb.864:                              ;   in Loop: Header=BB2_539 Depth=2
	v_and_b32_e32 v3, 0x7c0000, v4
	v_bfe_u32 v24, v4, 16, 2
	v_cmp_ne_u32_e32 vcc, s71, v3
                                        ; implicit-def: $vgpr3
	s_and_saveexec_b64 s[52:53], vcc
	s_xor_b64 s[52:53], exec, s[52:53]
	s_cbranch_execz .LBB2_866
; %bb.865:                              ;   in Loop: Header=BB2_539 Depth=2
	v_ffbh_u32_e32 v25, v24
	v_bfe_u32 v3, v4, 18, 5
	v_min_u32_e32 v25, 32, v25
	v_subrev_u32_e32 v29, 29, v25
	v_sub_u32_e32 v25, 30, v25
	v_cmp_eq_u32_e32 vcc, 0, v3
	v_lshlrev_b64 v[32:33], v29, v[28:29]
	v_cndmask_b32_e32 v3, v3, v25, vcc
	v_and_b32_e32 v29, 3, v32
	v_lshlrev_b32_e32 v25, 24, v28
	v_lshl_add_u32 v3, v3, 23, v47
	v_cndmask_b32_e32 v24, v24, v29, vcc
	v_and_or_b32 v3, v25, s67, v3
	v_lshl_or_b32 v3, v24, 21, v3
                                        ; implicit-def: $vgpr24
                                        ; implicit-def: $vgpr28
.LBB2_866:                              ;   in Loop: Header=BB2_539 Depth=2
	s_andn2_saveexec_b64 s[52:53], s[52:53]
; %bb.867:                              ;   in Loop: Header=BB2_539 Depth=2
	v_cmp_gt_i16_sdwa vcc, sext(v28), v6 src0_sel:BYTE_0 src1_sel:DWORD
	v_cndmask_b32_e32 v3, v7, v10, vcc
	v_cmp_eq_u32_e32 vcc, 0, v24
	v_cndmask_b32_e32 v3, v11, v3, vcc
; %bb.868:                              ;   in Loop: Header=BB2_539 Depth=2
	s_or_b64 exec, exec, s[52:53]
.LBB2_869:                              ;   in Loop: Header=BB2_539 Depth=2
	s_or_b64 exec, exec, s[18:19]
.LBB2_870:                              ;   in Loop: Header=BB2_539 Depth=2
	s_or_b64 exec, exec, s[50:51]
	v_and_b32_sdwa v24, v54, s64 dst_sel:DWORD dst_unused:UNUSED_PAD src0_sel:WORD_1 src1_sel:DWORD
	v_cmp_ne_u16_e32 vcc, 0, v24
	s_and_saveexec_b64 s[18:19], vcc
	s_cbranch_execz .LBB2_878
; %bb.871:                              ;   in Loop: Header=BB2_539 Depth=2
	v_cmp_ne_u16_e32 vcc, s68, v24
	v_bfrev_b32_e32 v5, 1
	s_and_saveexec_b64 s[50:51], vcc
	s_cbranch_execz .LBB2_877
; %bb.872:                              ;   in Loop: Header=BB2_539 Depth=2
	v_and_b32_e32 v5, 0x7c0000, v54
	v_bfe_u32 v24, v54, 16, 2
	v_cmp_ne_u32_e32 vcc, s71, v5
                                        ; implicit-def: $vgpr5
	s_and_saveexec_b64 s[52:53], vcc
	s_xor_b64 s[52:53], exec, s[52:53]
	s_cbranch_execz .LBB2_874
; %bb.873:                              ;   in Loop: Header=BB2_539 Depth=2
	v_ffbh_u32_e32 v25, v24
	v_bfe_u32 v5, v54, 18, 5
	v_min_u32_e32 v25, 32, v25
	v_subrev_u32_e32 v28, 29, v25
	v_sub_u32_e32 v25, 30, v25
	v_cmp_eq_u32_e32 vcc, 0, v5
	v_lshlrev_b64 v[28:29], v28, v[2:3]
	v_cndmask_b32_e32 v5, v5, v25, vcc
	v_and_b32_e32 v28, 3, v28
	v_lshlrev_b32_e32 v2, 24, v2
	v_lshl_add_u32 v5, v5, 23, v47
	v_cndmask_b32_e32 v24, v24, v28, vcc
	v_and_or_b32 v2, v2, s67, v5
	v_lshl_or_b32 v5, v24, 21, v2
                                        ; implicit-def: $vgpr24
                                        ; implicit-def: $vgpr2
.LBB2_874:                              ;   in Loop: Header=BB2_539 Depth=2
	s_andn2_saveexec_b64 s[52:53], s[52:53]
; %bb.875:                              ;   in Loop: Header=BB2_539 Depth=2
	v_cmp_gt_i16_sdwa vcc, sext(v2), v6 src0_sel:BYTE_0 src1_sel:DWORD
	v_cndmask_b32_e32 v2, v7, v10, vcc
	v_cmp_eq_u32_e32 vcc, 0, v24
	v_cndmask_b32_e32 v5, v11, v2, vcc
; %bb.876:                              ;   in Loop: Header=BB2_539 Depth=2
	s_or_b64 exec, exec, s[52:53]
.LBB2_877:                              ;   in Loop: Header=BB2_539 Depth=2
	s_or_b64 exec, exec, s[50:51]
.LBB2_878:                              ;   in Loop: Header=BB2_539 Depth=2
	s_or_b64 exec, exec, s[18:19]
	v_max_f32_e32 v2, v5, v5
	v_max_f32_e32 v3, v3, v3
	v_min_f32_e32 v24, v3, v2
.LBB2_879:                              ;   in Loop: Header=BB2_539 Depth=2
	s_or_b64 exec, exec, s[48:49]
	v_and_b32_sdwa v5, v24, s68 dst_sel:DWORD dst_unused:UNUSED_PAD src0_sel:BYTE_3 src1_sel:DWORD
	v_and_b32_e32 v28, 0x7f800000, v24
	v_mov_b32_e32 v29, v55
	v_and_b32_e32 v2, 0x7fffff, v24
	v_mov_b32_e32 v3, v55
	v_or_b32_e32 v25, 0x7b, v5
	v_cmp_ne_u64_e32 vcc, s[40:41], v[28:29]
	s_and_saveexec_b64 s[18:19], vcc
	s_xor_b64 s[48:49], exec, s[18:19]
	s_cbranch_execz .LBB2_889
; %bb.880:                              ;   in Loop: Header=BB2_539 Depth=2
	v_and_b32_e32 v28, 0x7fffffff, v24
	v_mov_b32_e32 v29, v55
	v_cmp_gt_u64_e32 vcc, s[42:43], v[28:29]
	s_and_saveexec_b64 s[50:51], vcc
	s_cbranch_execz .LBB2_888
; %bb.881:                              ;   in Loop: Header=BB2_539 Depth=2
	v_cmp_ne_u32_e32 vcc, 0, v24
	v_mov_b32_e32 v25, 0
	s_and_saveexec_b64 s[52:53], vcc
	s_cbranch_execz .LBB2_887
; %bb.882:                              ;   in Loop: Header=BB2_539 Depth=2
	v_bfe_u32 v24, v24, 23, 8
	v_sub_u32_e32 v28, 0x71, v24
	v_cmp_gt_u32_e32 vcc, s69, v24
	v_cndmask_b32_e32 v28, 0, v28, vcc
	v_cmp_eq_u32_e32 vcc, 0, v24
	v_cndmask_b32_e32 v28, v28, v48, vcc
	v_add_u32_e32 v25, 0xffffff81, v24
	v_add_u32_e32 v24, 21, v28
	v_or_b32_e32 v29, 0x800000, v2
	v_cndmask_b32_e32 v50, v25, v30, vcc
	v_lshlrev_b64 v[24:25], v24, -1
	v_cndmask_b32_e32 v2, v29, v2, vcc
	v_not_b32_e32 v24, v24
	v_and_b32_e32 v32, v2, v24
	v_add_u32_e32 v24, 20, v28
	v_lshrrev_b64 v[2:3], v28, v[2:3]
	v_not_b32_e32 v25, v25
	v_lshlrev_b64 v[36:37], v24, 1
	v_lshrrev_b32_e32 v24, 23, v2
	v_and_b32_e32 v33, 0, v25
	v_add3_u32 v28, v28, v50, v24
	v_bfe_u32 v24, v2, 21, 1
	v_add_u32_e32 v24, -1, v24
	v_cmp_eq_u64_e32 vcc, v[32:33], v[36:37]
	v_cndmask_b32_e32 v24, 0, v24, vcc
	v_add_u32_e32 v24, v24, v2
	v_and_b32_e32 v24, 0x1fffff, v24
	v_add_co_u32_e32 v2, vcc, v24, v2
	v_add_u32_e32 v25, 14, v28
	v_addc_co_u32_e32 v3, vcc, 0, v3, vcc
	v_cmp_ne_u32_e32 vcc, 0, v25
                                        ; implicit-def: $vgpr24
	s_and_saveexec_b64 s[18:19], vcc
	s_xor_b64 s[18:19], exec, s[18:19]
; %bb.883:                              ;   in Loop: Header=BB2_539 Depth=2
	v_add_u32_e32 v24, 15, v28
	v_cmp_lt_u64_e32 vcc, s[44:45], v[2:3]
	v_cndmask_b32_e32 v24, v25, v24, vcc
	v_cndmask_b32_e64 v25, 0, 1, vcc
	v_lshrrev_b64 v[2:3], v25, v[2:3]
; %bb.884:                              ;   in Loop: Header=BB2_539 Depth=2
	s_andn2_saveexec_b64 s[18:19], s[18:19]
; %bb.885:                              ;   in Loop: Header=BB2_539 Depth=2
	v_bfe_u32 v24, v2, 23, 1
; %bb.886:                              ;   in Loop: Header=BB2_539 Depth=2
	s_or_b64 exec, exec, s[18:19]
	v_lshrrev_b64 v[2:3], 21, v[2:3]
	v_cmp_gt_i32_e32 vcc, 32, v24
	v_cndmask_b32_e32 v3, 0, v3, vcc
	v_cndmask_b32_e32 v2, 3, v2, vcc
	v_cmp_eq_u64_e64 s[18:19], 0, v[2:3]
	v_min_i32_e32 v3, 31, v24
	v_cmp_eq_u32_e32 vcc, 0, v24
	v_lshlrev_b32_e32 v3, 2, v3
	v_and_or_b32 v2, v2, 3, v3
	s_and_b64 s[18:19], vcc, s[18:19]
	v_cndmask_b32_e64 v2, v2, 0, s[18:19]
	v_or_b32_e32 v25, v2, v5
.LBB2_887:                              ;   in Loop: Header=BB2_539 Depth=2
	s_or_b64 exec, exec, s[52:53]
.LBB2_888:                              ;   in Loop: Header=BB2_539 Depth=2
	s_or_b64 exec, exec, s[50:51]
                                        ; implicit-def: $vgpr24
                                        ; implicit-def: $vgpr2_vgpr3
.LBB2_889:                              ;   in Loop: Header=BB2_539 Depth=2
	s_andn2_saveexec_b64 s[18:19], s[48:49]
; %bb.890:                              ;   in Loop: Header=BB2_539 Depth=2
	v_or_b32_sdwa v5, v24, s70 dst_sel:DWORD dst_unused:UNUSED_PAD src0_sel:BYTE_3 src1_sel:DWORD
	v_cmp_eq_u64_e32 vcc, 0, v[2:3]
	v_cndmask_b32_e32 v25, v5, v25, vcc
; %bb.891:                              ;   in Loop: Header=BB2_539 Depth=2
	s_or_b64 exec, exec, s[18:19]
	v_mov_b32_e32 v40, v55
	v_mov_b32_e32 v41, v4
	v_lshrrev_b32_e32 v24, 24, v4
	v_lshrrev_b32_e32 v28, 24, v54
	v_mov_b32_e32 v2, v55
	v_mov_b32_e32 v3, v54
	v_cmp_lt_u64_e32 vcc, s[38:39], v[40:41]
                                        ; implicit-def: $vgpr29
	s_and_saveexec_b64 s[18:19], s[14:15]
	s_xor_b64 s[48:49], exec, s[18:19]
	s_cbranch_execz .LBB2_909
; %bb.892:                              ;   in Loop: Header=BB2_539 Depth=2
	v_mov_b32_e32 v29, 0
	v_mov_b32_e32 v5, 0
	s_and_saveexec_b64 s[50:51], vcc
	s_cbranch_execz .LBB2_900
; %bb.893:                              ;   in Loop: Header=BB2_539 Depth=2
	v_cmp_ne_u32_e64 s[18:19], s68, v24
	v_bfrev_b32_e32 v5, 1
	s_and_saveexec_b64 s[52:53], s[18:19]
	s_cbranch_execz .LBB2_899
; %bb.894:                              ;   in Loop: Header=BB2_539 Depth=2
	v_and_b32_e32 v5, 0x7c000000, v4
	v_bfe_u32 v32, v4, 24, 2
	v_cmp_ne_u32_e64 s[18:19], s72, v5
                                        ; implicit-def: $vgpr5
	s_and_saveexec_b64 s[54:55], s[18:19]
	s_xor_b64 s[54:55], exec, s[54:55]
	s_cbranch_execz .LBB2_896
; %bb.895:                              ;   in Loop: Header=BB2_539 Depth=2
	v_ffbh_u32_e32 v33, v32
	v_min_u32_e32 v33, 32, v33
	v_bfe_u32 v5, v4, 26, 5
	v_subrev_u32_e32 v36, 29, v33
	v_lshlrev_b64 v[36:37], v36, v[24:25]
	v_sub_u32_e32 v24, 30, v33
	v_cmp_eq_u32_e64 s[18:19], 0, v5
	v_cndmask_b32_e64 v5, v5, v24, s[18:19]
	v_and_b32_e32 v33, 3, v36
	v_lshl_add_u32 v5, v5, 23, v47
	v_cndmask_b32_e64 v24, v32, v33, s[18:19]
	v_and_or_b32 v4, v4, s67, v5
	v_lshl_or_b32 v5, v24, 21, v4
                                        ; implicit-def: $vgpr32
                                        ; implicit-def: $vgpr40_vgpr41
.LBB2_896:                              ;   in Loop: Header=BB2_539 Depth=2
	s_andn2_saveexec_b64 s[54:55], s[54:55]
; %bb.897:                              ;   in Loop: Header=BB2_539 Depth=2
	v_cmp_lt_i64_e64 s[18:19], -1, v[40:41]
	v_cndmask_b32_e64 v4, v7, v10, s[18:19]
	v_cmp_eq_u32_e64 s[18:19], 0, v32
	v_cndmask_b32_e64 v5, v11, v4, s[18:19]
; %bb.898:                              ;   in Loop: Header=BB2_539 Depth=2
	s_or_b64 exec, exec, s[54:55]
.LBB2_899:                              ;   in Loop: Header=BB2_539 Depth=2
	s_or_b64 exec, exec, s[52:53]
.LBB2_900:                              ;   in Loop: Header=BB2_539 Depth=2
	s_or_b64 exec, exec, s[50:51]
	v_cmp_lt_u32_e64 s[18:19], s39, v54
	s_and_saveexec_b64 s[50:51], s[18:19]
	s_cbranch_execz .LBB2_908
; %bb.901:                              ;   in Loop: Header=BB2_539 Depth=2
	v_cmp_ne_u32_e64 s[18:19], s68, v28
	v_bfrev_b32_e32 v29, 1
	s_and_saveexec_b64 s[52:53], s[18:19]
	s_cbranch_execz .LBB2_907
; %bb.902:                              ;   in Loop: Header=BB2_539 Depth=2
	v_and_b32_e32 v24, 0x7c000000, v54
	v_bfe_u32 v4, v54, 24, 2
	v_cmp_ne_u32_e64 s[18:19], s72, v24
                                        ; implicit-def: $vgpr29
	s_and_saveexec_b64 s[54:55], s[18:19]
	s_xor_b64 s[54:55], exec, s[54:55]
	s_cbranch_execz .LBB2_904
; %bb.903:                              ;   in Loop: Header=BB2_539 Depth=2
	v_ffbh_u32_e32 v2, v4
	v_min_u32_e32 v29, 32, v2
	v_subrev_u32_e32 v2, 29, v29
	v_bfe_u32 v24, v54, 26, 5
	v_lshlrev_b64 v[2:3], v2, v[28:29]
	v_sub_u32_e32 v3, 30, v29
	v_cmp_eq_u32_e64 s[18:19], 0, v24
	v_cndmask_b32_e64 v3, v24, v3, s[18:19]
	v_and_b32_e32 v2, 3, v2
	v_lshl_add_u32 v3, v3, 23, v47
	v_cndmask_b32_e64 v2, v4, v2, s[18:19]
	v_and_or_b32 v3, v54, s67, v3
	v_lshl_or_b32 v29, v2, 21, v3
                                        ; implicit-def: $vgpr4
                                        ; implicit-def: $vgpr2_vgpr3
.LBB2_904:                              ;   in Loop: Header=BB2_539 Depth=2
	s_andn2_saveexec_b64 s[54:55], s[54:55]
; %bb.905:                              ;   in Loop: Header=BB2_539 Depth=2
	v_cmp_lt_i64_e64 s[18:19], -1, v[2:3]
	v_cndmask_b32_e64 v2, v7, v10, s[18:19]
	v_cmp_eq_u32_e64 s[18:19], 0, v4
	v_cndmask_b32_e64 v29, v11, v2, s[18:19]
; %bb.906:                              ;   in Loop: Header=BB2_539 Depth=2
	s_or_b64 exec, exec, s[54:55]
.LBB2_907:                              ;   in Loop: Header=BB2_539 Depth=2
	s_or_b64 exec, exec, s[52:53]
.LBB2_908:                              ;   in Loop: Header=BB2_539 Depth=2
	s_or_b64 exec, exec, s[50:51]
	v_max_f32_e32 v2, v29, v29
	v_max_f32_e32 v3, v5, v5
	;; [unrolled: 1-line block ×3, first 2 shown]
                                        ; implicit-def: $vgpr28
                                        ; implicit-def: $vgpr24
                                        ; implicit-def: $vgpr2_vgpr3
                                        ; implicit-def: $vgpr40_vgpr41
                                        ; implicit-def: $vgpr4_vgpr5
.LBB2_909:                              ;   in Loop: Header=BB2_539 Depth=2
	s_andn2_saveexec_b64 s[18:19], s[48:49]
	s_cbranch_execz .LBB2_927
; %bb.910:                              ;   in Loop: Header=BB2_539 Depth=2
	v_mov_b32_e32 v29, 0
	v_mov_b32_e32 v5, 0
	s_and_saveexec_b64 s[48:49], vcc
	s_cbranch_execz .LBB2_918
; %bb.911:                              ;   in Loop: Header=BB2_539 Depth=2
	v_cmp_ne_u32_e32 vcc, s68, v24
	v_bfrev_b32_e32 v5, 1
	s_and_saveexec_b64 s[50:51], vcc
	s_cbranch_execz .LBB2_917
; %bb.912:                              ;   in Loop: Header=BB2_539 Depth=2
	v_and_b32_e32 v5, 0x7c000000, v4
	v_bfe_u32 v32, v4, 24, 2
	v_cmp_ne_u32_e32 vcc, s72, v5
                                        ; implicit-def: $vgpr5
	s_and_saveexec_b64 s[52:53], vcc
	s_xor_b64 s[52:53], exec, s[52:53]
	s_cbranch_execz .LBB2_914
; %bb.913:                              ;   in Loop: Header=BB2_539 Depth=2
	v_ffbh_u32_e32 v33, v32
	v_min_u32_e32 v33, 32, v33
	v_bfe_u32 v5, v4, 26, 5
	v_subrev_u32_e32 v36, 29, v33
	v_lshlrev_b64 v[36:37], v36, v[24:25]
	v_sub_u32_e32 v24, 30, v33
	v_cmp_eq_u32_e32 vcc, 0, v5
	v_cndmask_b32_e32 v5, v5, v24, vcc
	v_and_b32_e32 v33, 3, v36
	v_lshl_add_u32 v5, v5, 23, v47
	v_cndmask_b32_e32 v24, v32, v33, vcc
	v_and_or_b32 v4, v4, s67, v5
	v_lshl_or_b32 v5, v24, 21, v4
                                        ; implicit-def: $vgpr32
                                        ; implicit-def: $vgpr40_vgpr41
.LBB2_914:                              ;   in Loop: Header=BB2_539 Depth=2
	s_andn2_saveexec_b64 s[52:53], s[52:53]
; %bb.915:                              ;   in Loop: Header=BB2_539 Depth=2
	v_cmp_lt_i64_e32 vcc, -1, v[40:41]
	v_cndmask_b32_e32 v4, v7, v10, vcc
	v_cmp_eq_u32_e32 vcc, 0, v32
	v_cndmask_b32_e32 v5, v11, v4, vcc
; %bb.916:                              ;   in Loop: Header=BB2_539 Depth=2
	s_or_b64 exec, exec, s[52:53]
.LBB2_917:                              ;   in Loop: Header=BB2_539 Depth=2
	s_or_b64 exec, exec, s[50:51]
.LBB2_918:                              ;   in Loop: Header=BB2_539 Depth=2
	s_or_b64 exec, exec, s[48:49]
	v_cmp_lt_u32_e32 vcc, s39, v54
	s_and_saveexec_b64 s[48:49], vcc
	s_cbranch_execz .LBB2_926
; %bb.919:                              ;   in Loop: Header=BB2_539 Depth=2
	v_cmp_ne_u32_e32 vcc, s68, v28
	v_bfrev_b32_e32 v29, 1
	s_and_saveexec_b64 s[50:51], vcc
	s_cbranch_execz .LBB2_925
; %bb.920:                              ;   in Loop: Header=BB2_539 Depth=2
	v_and_b32_e32 v24, 0x7c000000, v54
	v_bfe_u32 v4, v54, 24, 2
	v_cmp_ne_u32_e32 vcc, s72, v24
                                        ; implicit-def: $vgpr29
	s_and_saveexec_b64 s[52:53], vcc
	s_xor_b64 s[52:53], exec, s[52:53]
	s_cbranch_execz .LBB2_922
; %bb.921:                              ;   in Loop: Header=BB2_539 Depth=2
	v_ffbh_u32_e32 v2, v4
	v_min_u32_e32 v29, 32, v2
	v_subrev_u32_e32 v2, 29, v29
	v_bfe_u32 v24, v54, 26, 5
	v_lshlrev_b64 v[2:3], v2, v[28:29]
	v_sub_u32_e32 v3, 30, v29
	v_cmp_eq_u32_e32 vcc, 0, v24
	v_cndmask_b32_e32 v3, v24, v3, vcc
	v_and_b32_e32 v2, 3, v2
	v_lshl_add_u32 v3, v3, 23, v47
	v_cndmask_b32_e32 v2, v4, v2, vcc
	v_and_or_b32 v3, v54, s67, v3
	v_lshl_or_b32 v29, v2, 21, v3
                                        ; implicit-def: $vgpr4
                                        ; implicit-def: $vgpr2_vgpr3
.LBB2_922:                              ;   in Loop: Header=BB2_539 Depth=2
	s_andn2_saveexec_b64 s[52:53], s[52:53]
; %bb.923:                              ;   in Loop: Header=BB2_539 Depth=2
	v_cmp_lt_i64_e32 vcc, -1, v[2:3]
	v_cndmask_b32_e32 v2, v7, v10, vcc
	v_cmp_eq_u32_e32 vcc, 0, v4
	v_cndmask_b32_e32 v29, v11, v2, vcc
; %bb.924:                              ;   in Loop: Header=BB2_539 Depth=2
	s_or_b64 exec, exec, s[52:53]
.LBB2_925:                              ;   in Loop: Header=BB2_539 Depth=2
	s_or_b64 exec, exec, s[50:51]
.LBB2_926:                              ;   in Loop: Header=BB2_539 Depth=2
	s_or_b64 exec, exec, s[48:49]
	v_max_f32_e32 v2, v29, v29
	v_max_f32_e32 v3, v5, v5
	v_min_f32_e32 v29, v3, v2
.LBB2_927:                              ;   in Loop: Header=BB2_539 Depth=2
	s_or_b64 exec, exec, s[18:19]
	v_and_b32_sdwa v4, v29, s68 dst_sel:DWORD dst_unused:UNUSED_PAD src0_sel:BYTE_3 src1_sel:DWORD
	v_and_b32_e32 v32, 0x7f800000, v29
	v_mov_b32_e32 v33, v55
	v_and_b32_e32 v54, 0x7fffff, v29
	v_or_b32_e32 v2, 0x7b, v4
	v_cmp_ne_u64_e32 vcc, s[40:41], v[32:33]
	s_and_saveexec_b64 s[18:19], vcc
	s_xor_b64 s[48:49], exec, s[18:19]
	s_cbranch_execz .LBB2_937
; %bb.928:                              ;   in Loop: Header=BB2_539 Depth=2
	v_and_b32_e32 v32, 0x7fffffff, v29
	v_mov_b32_e32 v33, v55
	v_cmp_gt_u64_e32 vcc, s[42:43], v[32:33]
	s_and_saveexec_b64 s[50:51], vcc
	s_cbranch_execz .LBB2_936
; %bb.929:                              ;   in Loop: Header=BB2_539 Depth=2
	v_cmp_ne_u32_e32 vcc, 0, v29
	v_mov_b32_e32 v2, 0
	s_and_saveexec_b64 s[52:53], vcc
	s_cbranch_execz .LBB2_935
; %bb.930:                              ;   in Loop: Header=BB2_539 Depth=2
	v_bfe_u32 v2, v29, 23, 8
	v_sub_u32_e32 v5, 0x71, v2
	v_cmp_gt_u32_e32 vcc, s69, v2
	v_cndmask_b32_e32 v5, 0, v5, vcc
	v_cmp_eq_u32_e32 vcc, 0, v2
	v_or_b32_e32 v24, 0x800000, v54
	v_cndmask_b32_e32 v5, v5, v48, vcc
	v_add_u32_e32 v3, 0xffffff81, v2
	v_cndmask_b32_e32 v54, v24, v54, vcc
	v_add_u32_e32 v2, 21, v5
	v_cndmask_b32_e32 v28, v3, v30, vcc
	v_lshlrev_b64 v[2:3], v2, -1
	v_add_u32_e32 v24, 20, v5
	v_lshrrev_b64 v[36:37], v5, v[54:55]
	v_not_b32_e32 v3, v3
	v_not_b32_e32 v2, v2
	v_lshlrev_b64 v[32:33], v24, 1
	v_lshrrev_b32_e32 v24, 23, v36
	v_and_b32_e32 v3, 0, v3
	v_and_b32_e32 v2, v54, v2
	v_add3_u32 v28, v5, v28, v24
	v_bfe_u32 v5, v36, 21, 1
	v_add_u32_e32 v5, -1, v5
	v_cmp_eq_u64_e32 vcc, v[2:3], v[32:33]
	v_cndmask_b32_e32 v2, 0, v5, vcc
	v_add_u32_e32 v2, v2, v36
	v_and_b32_e32 v2, 0x1fffff, v2
	v_add_co_u32_e32 v2, vcc, v2, v36
	v_add_u32_e32 v24, 14, v28
	v_addc_co_u32_e32 v3, vcc, 0, v37, vcc
	v_cmp_ne_u32_e32 vcc, 0, v24
                                        ; implicit-def: $vgpr5
	s_and_saveexec_b64 s[18:19], vcc
	s_xor_b64 s[18:19], exec, s[18:19]
; %bb.931:                              ;   in Loop: Header=BB2_539 Depth=2
	v_add_u32_e32 v5, 15, v28
	v_cmp_lt_u64_e32 vcc, s[44:45], v[2:3]
	v_cndmask_b32_e32 v5, v24, v5, vcc
	v_cndmask_b32_e64 v24, 0, 1, vcc
	v_lshrrev_b64 v[2:3], v24, v[2:3]
; %bb.932:                              ;   in Loop: Header=BB2_539 Depth=2
	s_andn2_saveexec_b64 s[18:19], s[18:19]
; %bb.933:                              ;   in Loop: Header=BB2_539 Depth=2
	v_bfe_u32 v5, v2, 23, 1
; %bb.934:                              ;   in Loop: Header=BB2_539 Depth=2
	s_or_b64 exec, exec, s[18:19]
	v_lshrrev_b64 v[2:3], 21, v[2:3]
	v_cmp_gt_i32_e32 vcc, 32, v5
	v_cndmask_b32_e32 v3, 0, v3, vcc
	v_cndmask_b32_e32 v2, 3, v2, vcc
	v_cmp_eq_u64_e64 s[18:19], 0, v[2:3]
	v_min_i32_e32 v3, 31, v5
	v_lshlrev_b32_e32 v3, 2, v3
	v_cmp_eq_u32_e32 vcc, 0, v5
	v_and_b32_e32 v3, 0xfc, v3
	v_and_or_b32 v2, v2, 3, v3
	s_and_b64 s[18:19], vcc, s[18:19]
	v_cndmask_b32_e64 v2, v2, 0, s[18:19]
	v_or_b32_e32 v2, v2, v4
.LBB2_935:                              ;   in Loop: Header=BB2_539 Depth=2
	s_or_b64 exec, exec, s[52:53]
.LBB2_936:                              ;   in Loop: Header=BB2_539 Depth=2
	s_or_b64 exec, exec, s[50:51]
                                        ; implicit-def: $vgpr29
.LBB2_937:                              ;   in Loop: Header=BB2_539 Depth=2
	s_andn2_saveexec_b64 s[18:19], s[48:49]
; %bb.938:                              ;   in Loop: Header=BB2_539 Depth=2
	v_or_b32_sdwa v3, v29, s70 dst_sel:DWORD dst_unused:UNUSED_PAD src0_sel:BYTE_3 src1_sel:DWORD
	v_cmp_eq_u64_e32 vcc, 0, v[54:55]
	v_cndmask_b32_e32 v2, v3, v2, vcc
; %bb.939:                              ;   in Loop: Header=BB2_539 Depth=2
	s_or_b64 exec, exec, s[18:19]
	v_cmp_lt_u32_e32 vcc, 7, v62
	v_cndmask_b32_e64 v3, 0, 1, vcc
	;;#ASMSTART
	;;#ASMEND
	v_cmp_ne_u32_e64 s[18:19], 0, v3
	s_cmp_lg_u64 s[18:19], exec
	s_mov_b64 s[18:19], -1
	s_cbranch_scc0 .LBB2_949
; %bb.940:                              ;   in Loop: Header=BB2_539 Depth=2
	v_cmp_ne_u32_e64 s[18:19], 1, v62
	flat_store_byte v[0:1], v8
	s_and_saveexec_b64 s[48:49], s[18:19]
	s_cbranch_execnz .LBB2_951
; %bb.941:                              ;   in Loop: Header=BB2_539 Depth=2
	s_or_b64 exec, exec, s[48:49]
	v_cmp_lt_u32_e64 s[18:19], 2, v62
	s_and_saveexec_b64 s[48:49], s[18:19]
	s_cbranch_execnz .LBB2_952
.LBB2_942:                              ;   in Loop: Header=BB2_539 Depth=2
	s_or_b64 exec, exec, s[48:49]
	v_cmp_lt_u32_e64 s[18:19], 3, v62
	s_and_saveexec_b64 s[48:49], s[18:19]
	s_cbranch_execnz .LBB2_953
.LBB2_943:                              ;   in Loop: Header=BB2_539 Depth=2
	s_or_b64 exec, exec, s[48:49]
	v_cmp_lt_u32_e64 s[18:19], 4, v62
	s_and_saveexec_b64 s[48:49], s[18:19]
	s_cbranch_execnz .LBB2_954
.LBB2_944:                              ;   in Loop: Header=BB2_539 Depth=2
	s_or_b64 exec, exec, s[48:49]
	v_cmp_lt_u32_e64 s[18:19], 5, v62
	s_and_saveexec_b64 s[48:49], s[18:19]
	s_cbranch_execnz .LBB2_955
.LBB2_945:                              ;   in Loop: Header=BB2_539 Depth=2
	s_or_b64 exec, exec, s[48:49]
	v_cmp_lt_u32_e64 s[18:19], 6, v62
	s_and_saveexec_b64 s[48:49], s[18:19]
	s_cbranch_execnz .LBB2_956
.LBB2_946:                              ;   in Loop: Header=BB2_539 Depth=2
	s_or_b64 exec, exec, s[48:49]
	s_and_saveexec_b64 s[18:19], vcc
	s_cbranch_execz .LBB2_948
.LBB2_947:                              ;   in Loop: Header=BB2_539 Depth=2
	flat_store_byte v[0:1], v2 offset:7
.LBB2_948:                              ;   in Loop: Header=BB2_539 Depth=2
	s_or_b64 exec, exec, s[18:19]
	s_mov_b64 s[18:19], 0
.LBB2_949:                              ;   in Loop: Header=BB2_539 Depth=2
	s_and_b64 vcc, exec, s[18:19]
	s_cbranch_vccz .LBB2_538
; %bb.950:                              ;   in Loop: Header=BB2_539 Depth=2
	v_perm_b32 v4, v27, v21, s75
	v_lshlrev_b32_e32 v3, 8, v9
	v_perm_b32 v4, v4, v8, s76
	v_and_or_b32 v4, v3, s77, v4
	v_lshlrev_b32_e32 v3, 8, v23
	v_lshlrev_b32_e32 v5, 16, v25
	;; [unrolled: 1-line block ×3, first 2 shown]
	v_perm_b32 v3, v3, v22, s73
	v_and_b32_e32 v5, 0xff0000, v5
	v_or3_b32 v5, v2, v3, v5
	global_store_dwordx2 v[0:1], v[4:5], off
	s_branch .LBB2_538
.LBB2_951:                              ;   in Loop: Header=BB2_539 Depth=2
	flat_store_byte v[0:1], v9 offset:1
	s_or_b64 exec, exec, s[48:49]
	v_cmp_lt_u32_e64 s[18:19], 2, v62
	s_and_saveexec_b64 s[48:49], s[18:19]
	s_cbranch_execz .LBB2_942
.LBB2_952:                              ;   in Loop: Header=BB2_539 Depth=2
	flat_store_byte v[0:1], v21 offset:2
	s_or_b64 exec, exec, s[48:49]
	v_cmp_lt_u32_e64 s[18:19], 3, v62
	s_and_saveexec_b64 s[48:49], s[18:19]
	s_cbranch_execz .LBB2_943
.LBB2_953:                              ;   in Loop: Header=BB2_539 Depth=2
	flat_store_byte v[0:1], v27 offset:3
	s_or_b64 exec, exec, s[48:49]
	v_cmp_lt_u32_e64 s[18:19], 4, v62
	s_and_saveexec_b64 s[48:49], s[18:19]
	s_cbranch_execz .LBB2_944
.LBB2_954:                              ;   in Loop: Header=BB2_539 Depth=2
	flat_store_byte v[0:1], v22 offset:4
	s_or_b64 exec, exec, s[48:49]
	v_cmp_lt_u32_e64 s[18:19], 5, v62
	s_and_saveexec_b64 s[48:49], s[18:19]
	s_cbranch_execz .LBB2_945
.LBB2_955:                              ;   in Loop: Header=BB2_539 Depth=2
	flat_store_byte v[0:1], v23 offset:5
	s_or_b64 exec, exec, s[48:49]
	v_cmp_lt_u32_e64 s[18:19], 6, v62
	s_and_saveexec_b64 s[48:49], s[18:19]
	s_cbranch_execz .LBB2_946
.LBB2_956:                              ;   in Loop: Header=BB2_539 Depth=2
	flat_store_byte v[0:1], v25 offset:6
	s_or_b64 exec, exec, s[48:49]
	s_and_saveexec_b64 s[18:19], vcc
	s_cbranch_execnz .LBB2_947
	s_branch .LBB2_948
.LBB2_957:                              ;   in Loop: Header=BB2_21 Depth=1
	s_or_b64 exec, exec, s[46:47]
	v_accvgpr_read_b32 v33, a11
	v_accvgpr_read_b32 v36, a42
	;; [unrolled: 1-line block ×5, first 2 shown]
.LBB2_958:                              ;   in Loop: Header=BB2_21 Depth=1
	s_or_b64 exec, exec, s[20:21]
	v_accvgpr_read_b32 v4, a4
	v_accvgpr_read_b32 v18, a24
	;; [unrolled: 1-line block ×4, first 2 shown]
	s_and_saveexec_b64 s[18:19], s[10:11]
	s_cbranch_execz .LBB2_977
; %bb.959:                              ;   in Loop: Header=BB2_21 Depth=1
	s_and_saveexec_b64 s[20:21], s[30:31]
	s_xor_b64 s[20:21], exec, s[20:21]
	s_cbranch_execz .LBB2_974
; %bb.960:                              ;   in Loop: Header=BB2_21 Depth=1
	s_and_saveexec_b64 s[46:47], s[12:13]
	s_cbranch_execz .LBB2_973
; %bb.961:                              ;   in Loop: Header=BB2_21 Depth=1
	s_mov_b64 s[50:51], exec
	v_mbcnt_lo_u32_b32 v0, s50, 0
	v_mbcnt_hi_u32_b32 v0, s51, v0
	v_cmp_eq_u32_e32 vcc, 0, v0
	s_waitcnt vmcnt(0) lgkmcnt(0)
	buffer_wbinvl1_vol
	s_and_saveexec_b64 s[48:49], vcc
	s_cbranch_execz .LBB2_963
; %bb.962:                              ;   in Loop: Header=BB2_21 Depth=1
	s_bcnt1_i32_b64 vcc_lo, s[50:51]
	v_mov_b32_e32 v54, vcc_lo
	ds_add_u64 v0, v[54:55]
	s_trap 2
.LBB2_963:                              ;   in Loop: Header=BB2_21 Depth=1
	s_or_b64 exec, exec, s[48:49]
	s_trap 2
	ds_read_b64 v[0:1], v0
	v_accvgpr_read_b32 v2, a30
	v_add_co_u32_e32 v42, vcc, v42, v2
	v_accvgpr_read_b32 v3, a41
	v_addc_co_u32_e32 v43, vcc, v43, v3, vcc
	s_waitcnt lgkmcnt(0)
	v_cmp_lt_u64_e32 vcc, v[0:1], v[42:43]
	s_and_saveexec_b64 s[48:49], vcc
	s_cbranch_execz .LBB2_972
; %bb.964:                              ;   in Loop: Header=BB2_21 Depth=1
	s_mov_b32 s60, 0
	s_mov_b64 s[50:51], 0
                                        ; implicit-def: $sgpr52_sgpr53
                                        ; implicit-def: $sgpr54_sgpr55
	s_branch .LBB2_966
.LBB2_965:                              ;   in Loop: Header=BB2_966 Depth=2
	s_or_b64 exec, exec, s[58:59]
	s_and_b64 vcc, exec, vcc
	s_or_b64 s[50:51], vcc, s[50:51]
	s_andn2_b64 vcc, s[52:53], exec
	s_and_b64 s[52:53], s[54:55], exec
	s_or_b64 s[52:53], vcc, s[52:53]
	s_andn2_b64 exec, exec, s[50:51]
	s_cbranch_execz .LBB2_970
.LBB2_966:                              ;   Parent Loop BB2_21 Depth=1
                                        ; =>  This Inner Loop Header: Depth=2
	s_add_i32 s60, s60, 1
	s_cmpk_lg_i32 s60, 0x2710
	s_cselect_b64 s[56:57], -1, 0
	s_and_b64 vcc, exec, s[56:57]
                                        ; implicit-def: $sgpr58_sgpr59
	s_cbranch_vccnz .LBB2_968
; %bb.967:                              ;   in Loop: Header=BB2_966 Depth=2
	s_trap 2
	ds_read_b64 v[0:1], v0
	s_andn2_b64 s[56:57], s[56:57], exec
	s_mov_b32 s60, 0
	s_mov_b64 s[58:59], -1
	s_waitcnt lgkmcnt(0)
	flat_load_dword v0, v[0:1] glc
	s_waitcnt vmcnt(0) lgkmcnt(0)
	buffer_invl2
	buffer_wbinvl1_vol
	v_cmp_eq_u32_e32 vcc, 0, v0
	s_and_b64 vcc, vcc, exec
	s_or_b64 s[56:57], s[56:57], vcc
.LBB2_968:                              ;   in Loop: Header=BB2_966 Depth=2
	s_andn2_b64 s[54:55], s[54:55], exec
	s_and_b64 s[58:59], s[58:59], exec
	s_mov_b64 vcc, -1
	s_or_b64 s[54:55], s[54:55], s[58:59]
	s_and_saveexec_b64 s[58:59], s[56:57]
	s_cbranch_execz .LBB2_965
; %bb.969:                              ;   in Loop: Header=BB2_966 Depth=2
	s_sleep 1
	s_trap 2
	ds_read_b64 v[0:1], v0
	s_andn2_b64 s[54:55], s[54:55], exec
	s_waitcnt lgkmcnt(0)
	v_cmp_ge_u64_e32 vcc, v[0:1], v[42:43]
	s_orn2_b64 vcc, vcc, exec
	s_branch .LBB2_965
.LBB2_970:                              ;   in Loop: Header=BB2_21 Depth=1
	s_or_b64 exec, exec, s[50:51]
	s_and_saveexec_b64 vcc, s[52:53]
	s_xor_b64 vcc, exec, vcc
	s_cbranch_execz .LBB2_972
; %bb.971:                              ;   in Loop: Header=BB2_21 Depth=1
	v_mov_b32_e32 v0, 1
	ds_write_b32 v0, v0
	s_trap 2
.LBB2_972:                              ;   in Loop: Header=BB2_21 Depth=1
	s_or_b64 exec, exec, s[48:49]
	;;#ASMSTART
	s_wakeup
	;;#ASMEND
.LBB2_973:                              ;   in Loop: Header=BB2_21 Depth=1
	s_or_b64 exec, exec, s[46:47]
.LBB2_974:                              ;   in Loop: Header=BB2_21 Depth=1
	s_andn2_saveexec_b64 s[20:21], s[20:21]
	s_cbranch_execz .LBB2_976
; %bb.975:                              ;   in Loop: Header=BB2_21 Depth=1
	s_waitcnt vmcnt(0) lgkmcnt(0)
	buffer_wbinvl1_vol
	s_barrier
.LBB2_976:                              ;   in Loop: Header=BB2_21 Depth=1
	s_or_b64 exec, exec, s[20:21]
.LBB2_977:                              ;   in Loop: Header=BB2_21 Depth=1
	s_or_b64 exec, exec, s[18:19]
	s_and_saveexec_b64 s[18:19], s[16:17]
	s_cbranch_execz .LBB2_20
; %bb.978:                              ;   in Loop: Header=BB2_21 Depth=1
	v_add_co_u32_e32 v38, vcc, 1, v38
	v_accvgpr_read_b32 v0, a22
	v_addc_co_u32_e32 v39, vcc, 0, v39, vcc
	v_accvgpr_read_b32 v1, a23
	flat_store_dwordx2 v[0:1], v[38:39]
	s_branch .LBB2_20
.LBB2_979:
	s_or_b64 exec, exec, s[28:29]
	v_accvgpr_read_b32 v25, a15
	v_accvgpr_read_b32 v29, a17
	v_accvgpr_read_b32 v31, a0
	v_accvgpr_read_b32 v9, a1
	v_accvgpr_read_b32 v24, a14
	v_accvgpr_read_b32 v28, a16
.LBB2_980:
	s_or_b64 exec, exec, s[26:27]
; %bb.981:
	s_and_saveexec_b64 s[6:7], s[24:25]
	s_cbranch_execnz .LBB2_984
; %bb.982:
	s_or_b64 exec, exec, s[6:7]
	s_and_saveexec_b64 s[6:7], s[4:5]
	s_cbranch_execnz .LBB2_985
.LBB2_983:
	s_or_b64 exec, exec, s[6:7]
	v_cmp_ne_u32_e32 vcc, 64, v20
	s_and_saveexec_b64 s[4:5], vcc
	s_cbranch_execnz .LBB2_986
	s_branch .LBB2_1003
.LBB2_984:
	s_waitcnt vmcnt(0) lgkmcnt(0)
	flat_store_dwordx2 v[28:29], v[38:39] offset:104
	s_or_b64 exec, exec, s[6:7]
	s_and_saveexec_b64 s[6:7], s[4:5]
	s_cbranch_execz .LBB2_983
.LBB2_985:
	s_waitcnt vmcnt(0) lgkmcnt(0)
	flat_store_dwordx2 v[24:25], v[14:15] offset:104
	s_or_b64 exec, exec, s[6:7]
	v_cmp_ne_u32_e32 vcc, 64, v20
	s_and_saveexec_b64 s[4:5], vcc
	s_cbranch_execz .LBB2_1003
.LBB2_986:
	v_cmp_ne_u32_sdwa s[6:7], v9, v20 src0_sel:WORD_0 src1_sel:DWORD
	s_and_saveexec_b64 s[8:9], s[6:7]
	s_xor_b64 s[6:7], exec, s[8:9]
	s_cbranch_execz .LBB2_1001
; %bb.987:
	v_and_b32_e32 v0, 63, v31
	v_cmp_eq_u32_e32 vcc, 0, v0
	s_and_saveexec_b64 s[8:9], vcc
	s_cbranch_execz .LBB2_1000
; %bb.988:
	s_mov_b64 s[12:13], exec
	v_mbcnt_lo_u32_b32 v0, s12, 0
	v_mbcnt_hi_u32_b32 v0, s13, v0
	v_cmp_eq_u32_e32 vcc, 0, v0
	s_waitcnt vmcnt(0) lgkmcnt(0)
	buffer_wbinvl1_vol
	s_and_saveexec_b64 s[10:11], vcc
	s_cbranch_execz .LBB2_990
; %bb.989:
	s_bcnt1_i32_b64 s12, s[12:13]
	v_mov_b32_e32 v0, s12
	v_mov_b32_e32 v1, 0
	ds_add_u64 v0, v[0:1]
	s_trap 2
.LBB2_990:
	s_or_b64 exec, exec, s[10:11]
	v_ashrrev_i32_e32 v0, 31, v20
	v_lshrrev_b32_e32 v0, 26, v0
	v_add_u32_e32 v0, v20, v0
	v_ashrrev_i32_e32 v0, 6, v0
	s_trap 2
	ds_read_b64 v[2:3], v0
	v_ashrrev_i32_e32 v1, 31, v0
	v_add_co_u32_e32 v0, vcc, v42, v0
	v_addc_co_u32_e32 v1, vcc, v43, v1, vcc
	s_waitcnt lgkmcnt(0)
	v_cmp_lt_u64_e32 vcc, v[2:3], v[0:1]
	s_and_saveexec_b64 s[10:11], vcc
	s_cbranch_execz .LBB2_999
; %bb.991:
	s_mov_b32 s24, 0
	s_mov_b64 s[12:13], 0
                                        ; implicit-def: $sgpr14_sgpr15
                                        ; implicit-def: $sgpr16_sgpr17
	s_branch .LBB2_993
.LBB2_992:                              ;   in Loop: Header=BB2_993 Depth=1
	s_or_b64 exec, exec, s[22:23]
	s_and_b64 s[18:19], exec, s[20:21]
	s_or_b64 s[12:13], s[18:19], s[12:13]
	s_andn2_b64 s[14:15], s[14:15], exec
	s_and_b64 s[18:19], s[16:17], exec
	s_or_b64 s[14:15], s[14:15], s[18:19]
	s_andn2_b64 exec, exec, s[12:13]
	s_cbranch_execz .LBB2_997
.LBB2_993:                              ; =>This Inner Loop Header: Depth=1
	s_add_i32 s24, s24, 1
	s_cmpk_lg_i32 s24, 0x2710
	s_cselect_b64 s[18:19], -1, 0
	s_and_b64 vcc, exec, s[18:19]
                                        ; implicit-def: $sgpr22_sgpr23
	s_cbranch_vccnz .LBB2_995
; %bb.994:                              ;   in Loop: Header=BB2_993 Depth=1
	s_trap 2
	ds_read_b64 v[2:3], v0
	s_andn2_b64 s[18:19], s[18:19], exec
	s_mov_b32 s24, 0
	s_mov_b64 s[22:23], -1
	s_waitcnt lgkmcnt(0)
	flat_load_dword v2, v[2:3] glc
	s_waitcnt vmcnt(0) lgkmcnt(0)
	buffer_invl2
	buffer_wbinvl1_vol
	v_cmp_eq_u32_e32 vcc, 0, v2
	s_and_b64 s[20:21], vcc, exec
	s_or_b64 s[18:19], s[18:19], s[20:21]
.LBB2_995:                              ;   in Loop: Header=BB2_993 Depth=1
	s_andn2_b64 s[16:17], s[16:17], exec
	s_and_b64 s[22:23], s[22:23], exec
	s_mov_b64 s[20:21], -1
	s_or_b64 s[16:17], s[16:17], s[22:23]
	s_and_saveexec_b64 s[22:23], s[18:19]
	s_cbranch_execz .LBB2_992
; %bb.996:                              ;   in Loop: Header=BB2_993 Depth=1
	s_sleep 1
	s_trap 2
	ds_read_b64 v[2:3], v0
	s_andn2_b64 s[16:17], s[16:17], exec
	s_waitcnt lgkmcnt(0)
	v_cmp_ge_u64_e32 vcc, v[2:3], v[0:1]
	s_orn2_b64 s[20:21], vcc, exec
	s_branch .LBB2_992
.LBB2_997:
	s_or_b64 exec, exec, s[12:13]
	s_and_saveexec_b64 s[12:13], s[14:15]
	s_xor_b64 s[12:13], exec, s[12:13]
	s_cbranch_execz .LBB2_999
; %bb.998:
	v_mov_b32_e32 v0, 1
	ds_write_b32 v0, v0
	s_trap 2
.LBB2_999:
	s_or_b64 exec, exec, s[10:11]
	;;#ASMSTART
	s_wakeup
	;;#ASMEND
.LBB2_1000:
	s_or_b64 exec, exec, s[8:9]
.LBB2_1001:
	s_andn2_saveexec_b64 s[6:7], s[6:7]
	s_cbranch_execz .LBB2_1003
; %bb.1002:
	s_waitcnt vmcnt(0) lgkmcnt(0)
	buffer_wbinvl1_vol
	s_barrier
.LBB2_1003:
	s_or_b64 exec, exec, s[4:5]
	buffer_load_dword a49, off, s[0:3], s32 ; 4-byte Folded Reload
	buffer_load_dword a48, off, s[0:3], s32 offset:4 ; 4-byte Folded Reload
	buffer_load_dword a46, off, s[0:3], s32 offset:8 ; 4-byte Folded Reload
	;; [unrolled: 1-line block ×31, first 2 shown]
	v_readlane_b32 s30, v63, 46
	v_readlane_b32 s31, v63, 47
	;; [unrolled: 1-line block ×48, first 2 shown]
	s_or_saveexec_b64 s[4:5], -1
	buffer_load_dword v63, off, s[0:3], s32 offset:128 ; 4-byte Folded Reload
	s_mov_b64 exec, s[4:5]
	s_waitcnt vmcnt(0) lgkmcnt(0)
	s_setpc_b64 s[30:31]
.Lfunc_end2:
	.size	_ZN12_GLOBAL__N_17runRingI14__hip_fp8_e5m210FuncMinMaxIS1_E7ProtoLLLi0ELi2ELi0EEEviiP15ncclDevWorkColl, .Lfunc_end2-_ZN12_GLOBAL__N_17runRingI14__hip_fp8_e5m210FuncMinMaxIS1_E7ProtoLLLi0ELi2ELi0EEEviiP15ncclDevWorkColl
                                        ; -- End function
	.section	.AMDGPU.csdata,"",@progbits
; Function info:
; codeLenInByte = 28704
; NumSgprs: 84
; NumVgprs: 64
; NumAgprs: 50
; TotalNumVgprs: 114
; ScratchSize: 136
; MemoryBound: 0
	.text
	.p2align	2                               ; -- Begin function _Z53ncclDevFunc_ReduceScatter_RING_LL_MinMax_f8e5m2_0_0_2v
	.type	_Z53ncclDevFunc_ReduceScatter_RING_LL_MinMax_f8e5m2_0_0_2v,@function
_Z53ncclDevFunc_ReduceScatter_RING_LL_MinMax_f8e5m2_0_0_2v: ; @_Z53ncclDevFunc_ReduceScatter_RING_LL_MinMax_f8e5m2_0_0_2v
; %bb.0:
	s_waitcnt vmcnt(0) expcnt(0) lgkmcnt(0)
	s_mov_b32 s4, s33
	s_mov_b32 s33, s32
	s_or_saveexec_b64 s[6:7], -1
	buffer_store_dword v43, off, s[0:3], s33 offset:16 ; 4-byte Folded Spill
	s_mov_b64 exec, s[6:7]
	v_writelane_b32 v43, s4, 56
	s_addk_i32 s32, 0x800
	buffer_store_dword v40, off, s[0:3], s33 offset:12 ; 4-byte Folded Spill
	buffer_store_dword v41, off, s[0:3], s33 offset:8 ; 4-byte Folded Spill
	;; [unrolled: 1-line block ×3, first 2 shown]
	buffer_store_dword v63, off, s[0:3], s33 ; 4-byte Folded Spill
	v_writelane_b32 v43, s34, 0
	v_writelane_b32 v43, s35, 1
	v_writelane_b32 v43, s36, 2
	v_writelane_b32 v43, s37, 3
	v_writelane_b32 v43, s38, 4
	v_writelane_b32 v43, s39, 5
	v_writelane_b32 v43, s40, 6
	v_writelane_b32 v43, s41, 7
	v_writelane_b32 v43, s42, 8
	v_writelane_b32 v43, s43, 9
	v_writelane_b32 v43, s44, 10
	v_writelane_b32 v43, s45, 11
	v_writelane_b32 v43, s46, 12
	v_writelane_b32 v43, s47, 13
	v_writelane_b32 v43, s48, 14
	v_writelane_b32 v43, s49, 15
	v_writelane_b32 v43, s50, 16
	v_writelane_b32 v43, s51, 17
	v_writelane_b32 v43, s52, 18
	v_writelane_b32 v43, s53, 19
	v_writelane_b32 v43, s54, 20
	v_writelane_b32 v43, s55, 21
	v_writelane_b32 v43, s56, 22
	v_writelane_b32 v43, s57, 23
	v_writelane_b32 v43, s58, 24
	v_writelane_b32 v43, s59, 25
	v_writelane_b32 v43, s60, 26
	v_writelane_b32 v43, s61, 27
	v_writelane_b32 v43, s62, 28
	v_writelane_b32 v43, s63, 29
	v_writelane_b32 v43, s64, 30
	v_writelane_b32 v43, s65, 31
	v_writelane_b32 v43, s66, 32
	v_writelane_b32 v43, s67, 33
	v_writelane_b32 v43, s68, 34
	v_writelane_b32 v43, s69, 35
	v_writelane_b32 v43, s70, 36
	v_writelane_b32 v43, s71, 37
	v_writelane_b32 v43, s72, 38
	v_writelane_b32 v43, s73, 39
	v_writelane_b32 v43, s74, 40
	v_writelane_b32 v43, s75, 41
	v_writelane_b32 v43, s76, 42
	v_writelane_b32 v43, s77, 43
	v_writelane_b32 v43, s78, 44
	v_writelane_b32 v43, s79, 45
	v_writelane_b32 v43, s80, 46
	v_writelane_b32 v43, s81, 47
	v_writelane_b32 v43, s82, 48
	v_writelane_b32 v43, s83, 49
	v_writelane_b32 v43, s84, 50
	v_writelane_b32 v43, s85, 51
	v_writelane_b32 v43, s86, 52
	v_writelane_b32 v43, s87, 53
	v_writelane_b32 v43, s30, 54
	v_writelane_b32 v43, s31, 55
	s_trap 2
	ds_read_b32 v0, v0
	v_mov_b32_e32 v40, v31
	v_and_b32_e32 v41, 0x3ff, v40
	s_mov_b32 s82, s12
	s_mov_b64 s[80:81], s[8:9]
	s_waitcnt lgkmcnt(0)
	v_cmp_lt_i32_e32 vcc, v41, v0
	s_and_saveexec_b64 s[4:5], vcc
	s_cbranch_execz .LBB3_5
; %bb.1:
	s_load_dword s6, s[80:81], 0x0
	v_mov_b32_e32 v1, 0
	s_mov_b32 s10, 0
	v_mov_b32_e32 v4, v41
                                        ; implicit-def: $vgpr2
	s_waitcnt lgkmcnt(0)
	s_cmp_lt_u32 s82, s6
	s_cselect_b32 s6, 12, 18
	s_add_u32 s6, s80, s6
	s_addc_u32 s7, s81, 0
	global_load_ushort v1, v1, s[6:7]
	s_trap 2
	ds_read_b32 v3, v0
	s_mov_b64 s[6:7], 0
	s_waitcnt vmcnt(0) lgkmcnt(0)
	v_mul_lo_u32 v3, v3, v1
	s_branch .LBB3_3
.LBB3_2:                                ;   in Loop: Header=BB3_3 Depth=1
	s_or_b64 exec, exec, s[8:9]
	v_add_u32_e32 v4, v4, v1
	v_cmp_ge_i32_e32 vcc, v4, v0
	s_or_b64 s[6:7], vcc, s[6:7]
	v_add_u32_e32 v2, v2, v3
	s_andn2_b64 exec, exec, s[6:7]
	s_cbranch_execz .LBB3_5
.LBB3_3:                                ; =>This Inner Loop Header: Depth=1
	ds_read_b32 v5, v2
	s_waitcnt lgkmcnt(0)
	v_and_b32_e32 v5, 0x1000000, v5
	v_cmp_ne_u32_e32 vcc, 0, v5
	s_and_saveexec_b64 s[8:9], vcc
	s_cbranch_execz .LBB3_2
; %bb.4:                                ;   in Loop: Header=BB3_3 Depth=1
	ds_read_b64 v[6:7], v2 offset:104
	s_waitcnt lgkmcnt(0)
	flat_load_ubyte v5, v[6:7]
	v_mov_b32_e32 v7, s10
	s_waitcnt vmcnt(0) lgkmcnt(0)
	v_and_b32_e32 v6, 0xffff, v5
	ds_write_b64 v2, v[6:7] offset:104
	s_branch .LBB3_2
.LBB3_5:
	s_or_b64 exec, exec, s[4:5]
	s_waitcnt lgkmcnt(0)
	s_barrier
	s_trap 2
	ds_read_b32 v0, v0
	s_waitcnt lgkmcnt(0)
	v_cmp_gt_i32_e32 vcc, 1, v0
	s_cbranch_vccnz .LBB3_13
; %bb.6:
	s_mov_b32 s83, 0
	s_mov_b64 s[84:85], src_shared_base
	v_mov_b32_e32 v42, 6
	s_branch .LBB3_8
.LBB3_7:                                ;   in Loop: Header=BB3_8 Depth=1
	s_or_b64 exec, exec, s[86:87]
	s_trap 2
	ds_read_b32 v0, v0
	s_add_i32 s83, s83, 1
	s_waitcnt lgkmcnt(0)
	v_cmp_lt_i32_e32 vcc, s83, v0
	s_cbranch_vccz .LBB3_13
.LBB3_8:                                ; =>This Inner Loop Header: Depth=1
	s_trap 2
	ds_read_b32 v0, v0
	s_cmp_eq_u32 s83, 0
	s_cbranch_scc1 .LBB3_11
; %bb.9:                                ;   in Loop: Header=BB3_8 Depth=1
	s_trap 2
	s_waitcnt lgkmcnt(0)
	ds_read_b32 v1, v0
	s_waitcnt lgkmcnt(0)
	v_xor_b32_e32 v1, v1, v0
	v_and_b32_e32 v1, 0xff0000, v1
	v_cmp_eq_u32_e32 vcc, 0, v1
	s_cbranch_vccnz .LBB3_11
; %bb.10:                               ;   in Loop: Header=BB3_8 Depth=1
	s_barrier
	ds_read_b32 v0, v0
.LBB3_11:                               ;   in Loop: Header=BB3_8 Depth=1
	s_waitcnt lgkmcnt(0)
	v_lshlrev_b32_sdwa v1, v42, v0 dst_sel:DWORD dst_unused:UNUSED_PAD src0_sel:DWORD src1_sel:BYTE_2
	v_cmp_lt_u32_e32 vcc, v41, v1
	s_and_saveexec_b64 s[86:87], vcc
	s_cbranch_execz .LBB3_7
; %bb.12:                               ;   in Loop: Header=BB3_8 Depth=1
	s_mov_b64 s[8:9], s[80:81]
	s_mov_b32 s12, s82
	v_mov_b32_e32 v31, v40
	v_mov_b32_e32 v0, v41
	;; [unrolled: 1-line block ×3, first 2 shown]
	s_getpc_b64 s[4:5]
	s_add_u32 s4, s4, _ZN12_GLOBAL__N_17runRingI14__hip_fp8_e5m210FuncMinMaxIS1_E7ProtoLLLi0ELi2ELi0EEEviiP15ncclDevWorkColl@rel32@lo+4
	s_addc_u32 s5, s5, _ZN12_GLOBAL__N_17runRingI14__hip_fp8_e5m210FuncMinMaxIS1_E7ProtoLLLi0ELi2ELi0EEEviiP15ncclDevWorkColl@rel32@hi+12
	s_swappc_b64 s[30:31], s[4:5]
	s_branch .LBB3_7
.LBB3_13:
	buffer_load_dword v63, off, s[0:3], s33 ; 4-byte Folded Reload
	buffer_load_dword v42, off, s[0:3], s33 offset:4 ; 4-byte Folded Reload
	buffer_load_dword v41, off, s[0:3], s33 offset:8 ; 4-byte Folded Reload
	;; [unrolled: 1-line block ×3, first 2 shown]
	v_readlane_b32 s30, v43, 54
	v_readlane_b32 s31, v43, 55
	;; [unrolled: 1-line block ×57, first 2 shown]
	s_or_saveexec_b64 s[6:7], -1
	buffer_load_dword v43, off, s[0:3], s33 offset:16 ; 4-byte Folded Reload
	s_mov_b64 exec, s[6:7]
	s_addk_i32 s32, 0xf800
	s_mov_b32 s33, s4
	s_waitcnt vmcnt(0)
	s_setpc_b64 s[30:31]
.Lfunc_end3:
	.size	_Z53ncclDevFunc_ReduceScatter_RING_LL_MinMax_f8e5m2_0_0_2v, .Lfunc_end3-_Z53ncclDevFunc_ReduceScatter_RING_LL_MinMax_f8e5m2_0_0_2v
                                        ; -- End function
	.section	.AMDGPU.csdata,"",@progbits
; Function info:
; codeLenInByte = 1504
; NumSgprs: 92
; NumVgprs: 64
; NumAgprs: 50
; TotalNumVgprs: 114
; ScratchSize: 168
; MemoryBound: 0
	.text
	.p2align	2                               ; -- Begin function _ZN12_GLOBAL__N_17runRingI14__hip_fp8_e5m210FuncMinMaxIS1_E7ProtoLLLi0ELi4ELi0EEEviiP15ncclDevWorkColl
	.type	_ZN12_GLOBAL__N_17runRingI14__hip_fp8_e5m210FuncMinMaxIS1_E7ProtoLLLi0ELi4ELi0EEEviiP15ncclDevWorkColl,@function
_ZN12_GLOBAL__N_17runRingI14__hip_fp8_e5m210FuncMinMaxIS1_E7ProtoLLLi0ELi4ELi0EEEviiP15ncclDevWorkColl: ; @_ZN12_GLOBAL__N_17runRingI14__hip_fp8_e5m210FuncMinMaxIS1_E7ProtoLLLi0ELi4ELi0EEEviiP15ncclDevWorkColl
; %bb.0:
	s_waitcnt vmcnt(0) expcnt(0) lgkmcnt(0)
	s_or_saveexec_b64 s[4:5], -1
	buffer_store_dword v63, off, s[0:3], s32 offset:128 ; 4-byte Folded Spill
	s_mov_b64 exec, s[4:5]
	buffer_store_dword v40, off, s[0:3], s32 offset:124 ; 4-byte Folded Spill
	buffer_store_dword v41, off, s[0:3], s32 offset:120 ; 4-byte Folded Spill
	;; [unrolled: 1-line block ×31, first 2 shown]
	buffer_store_dword a49, off, s[0:3], s32 ; 4-byte Folded Spill
	v_writelane_b32 v63, s34, 0
	v_writelane_b32 v63, s35, 1
	;; [unrolled: 1-line block ×48, first 2 shown]
	s_trap 2
	flat_load_dword v7, v[2:3]
	flat_load_dwordx4 v[10:13], v[2:3] offset:72
	flat_load_dwordx2 v[22:23], v[2:3] offset:88
	ds_read_b32 v5, v0
	ds_read_b64 v[60:61], v0
	v_mov_b32_e32 v20, v1
                                        ; implicit-def: $vgpr26_vgpr27
                                        ; implicit-def: $agpr8_agpr9
	s_waitcnt lgkmcnt(0)
	v_readfirstlane_b32 s22, v5
	s_waitcnt vmcnt(0)
	v_not_b32_sdwa v6, v7 dst_sel:DWORD dst_unused:UNUSED_PAD src0_sel:BYTE_0
	v_add_u32_sdwa v4, v7, v6 dst_sel:DWORD dst_unused:UNUSED_PAD src0_sel:BYTE_1 src1_sel:DWORD
	v_ashrrev_i32_e32 v8, 31, v4
	v_mul_lo_u32 v9, v13, v4
	v_mad_u64_u32 v[18:19], s[4:5], v12, v4, 0
	v_accvgpr_write_b32 a2, v10
	v_mul_lo_u32 v4, v12, v8
	v_accvgpr_write_b32 a3, v11
	v_accvgpr_write_b32 a4, v12
	;; [unrolled: 1-line block ×3, first 2 shown]
	v_add3_u32 v4, v19, v4, v9
	v_cmp_ne_u32_sdwa s[4:5], v7, v5 src0_sel:BYTE_0 src1_sel:DWORD
	s_and_saveexec_b64 s[6:7], s[4:5]
	s_xor_b64 s[4:5], exec, s[6:7]
	s_cbranch_execz .LBB4_6
; %bb.1:
	v_cmp_ne_u32_sdwa s[6:7], v7, v5 src0_sel:BYTE_1 src1_sel:DWORD
                                        ; implicit-def: $vgpr26_vgpr27
                                        ; implicit-def: $agpr8_agpr9
	s_and_saveexec_b64 s[10:11], s[6:7]
	s_xor_b64 s[6:7], exec, s[10:11]
	s_cbranch_execz .LBB4_3
; %bb.2:
	flat_load_dwordx2 v[8:9], v[2:3] offset:96
	v_add_u32_e32 v5, v5, v6
	v_accvgpr_read_b32 v13, a5
	v_ashrrev_i32_e32 v6, 31, v5
	v_accvgpr_read_b32 v12, a4
	v_accvgpr_read_b32 v11, a3
	;; [unrolled: 1-line block ×3, first 2 shown]
	v_mul_lo_u32 v6, v12, v6
	v_mul_lo_u32 v7, v13, v5
	v_mad_u64_u32 v[10:11], s[10:11], v12, v5, v[10:11]
	v_add3_u32 v11, v7, v11, v6
	v_accvgpr_write_b32 a8, v10
	v_accvgpr_write_b32 a9, v11
	s_waitcnt vmcnt(0) lgkmcnt(0)
	v_lshrrev_b64 v[26:27], 17, v[8:9]
.LBB4_3:
	s_andn2_saveexec_b64 s[6:7], s[6:7]
	s_cbranch_execz .LBB4_5
; %bb.4:
	flat_load_dword v5, v[2:3] offset:100
	v_accvgpr_read_b32 v7, a3
	v_accvgpr_read_b32 v6, a2
	v_add_co_u32_e32 v8, vcc, v18, v6
	v_addc_co_u32_e32 v9, vcc, v4, v7, vcc
	v_accvgpr_write_b32 a8, v8
	v_accvgpr_write_b32 a9, v9
	v_pk_mov_b32 v[8:9], v[22:23], v[22:23] op_sel:[0,1]
	v_accvgpr_write_b32 a2, v6
	v_accvgpr_write_b32 a3, v7
	;; [unrolled: 1-line block ×4, first 2 shown]
	s_waitcnt vmcnt(0) lgkmcnt(0)
	v_lshrrev_b32_e32 v26, 6, v5
.LBB4_5:
	s_or_b64 exec, exec, s[6:7]
.LBB4_6:
	s_andn2_saveexec_b64 s[4:5], s[4:5]
	s_cbranch_execz .LBB4_8
; %bb.7:
	flat_load_dwordx2 v[6:7], v[2:3] offset:96
	v_pk_mov_b32 v[8:9], 0, 0
	v_accvgpr_write_b32 a8, v8
	v_accvgpr_mov_b32 a5, a3
	v_accvgpr_write_b32 a9, v9
	v_accvgpr_mov_b32 a4, a2
	s_waitcnt vmcnt(0) lgkmcnt(0)
	v_lshlrev_b64 v[26:27], 4, v[6:7]
.LBB4_8:
	s_or_b64 exec, exec, s[4:5]
	s_load_dword s4, s[8:9], 0x0
	flat_load_dwordx2 v[8:9], v[2:3] offset:104
	flat_load_ushort v7, v[2:3] offset:8
	flat_load_dword v6, v[2:3] offset:4
	flat_load_dwordx4 a[10:13], v[2:3] offset:16
	v_mov_b32_e32 v3, 0
	v_mov_b32_e32 v10, v0
	s_waitcnt lgkmcnt(0)
	s_cmp_lt_u32 s12, s4
	s_cselect_b32 s4, 12, 18
	s_add_u32 s4, s8, s4
	s_addc_u32 s5, s9, 0
	global_load_ushort v9, v3, s[4:5]
	s_trap 2
	ds_read_b32 v2, v0
	v_and_b32_e32 v5, 63, v10
	s_mov_b32 s6, 0
	v_pk_mov_b32 v[24:25], 0, 0
	v_cmp_eq_u32_e64 s[4:5], 0, v5
	s_waitcnt lgkmcnt(0)
	v_cmp_gt_i32_e32 vcc, 0, v2
	v_readfirstlane_b32 s8, v2
	s_waitcnt vmcnt(0)
	v_lshrrev_b64 v[6:7], 31, v[6:7]
	v_and_b32_e32 v6, 3, v6
	s_cbranch_vccnz .LBB4_10
; %bb.9:
	s_trap 2
	ds_read_b64 v[10:11], v0
	v_lshlrev_b64 v[2:3], 3, v[2:3]
	v_and_b32_e32 v7, 0xffff, v6
	s_movk_i32 s6, 0xa8
	s_waitcnt lgkmcnt(0)
	v_add_co_u32_e32 v2, vcc, v10, v2
	v_addc_co_u32_e32 v3, vcc, v11, v3, vcc
	flat_load_dwordx2 v[2:3], v[2:3]
	s_waitcnt vmcnt(0) lgkmcnt(0)
	v_mad_u64_u32 v[2:3], s[6:7], v7, s6, v[2:3]
	flat_load_dwordx2 a[18:19], v[2:3] offset:504
	flat_load_dwordx2 v[34:35], v[2:3] offset:608
	v_add_co_u32_e32 v2, vcc, 0x1f8, v2
	v_addc_co_u32_e32 v3, vcc, 0, v3, vcc
	v_cndmask_b32_e64 v29, 0, v3, s[4:5]
	v_cndmask_b32_e64 v28, 0, v2, s[4:5]
	s_mov_b32 s6, 1
	s_branch .LBB4_11
.LBB4_10:
	v_pk_mov_b32 v[28:29], v[24:25], v[24:25] op_sel:[0,1]
                                        ; implicit-def: $vgpr34_vgpr35
                                        ; implicit-def: $agpr18_agpr19
.LBB4_11:
	s_trap 2
	ds_read_b32 v2, v0
	s_waitcnt lgkmcnt(0)
	v_cmp_gt_i32_e32 vcc, 0, v2
	s_cbranch_vccnz .LBB4_13
; %bb.12:
	s_trap 2
	ds_read_b64 v[10:11], v0
	v_mov_b32_e32 v3, 0
	v_lshlrev_b64 v[2:3], 3, v[2:3]
	v_and_b32_e32 v6, 0xffff, v6
	s_movk_i32 s4, 0xa8
	s_waitcnt lgkmcnt(0)
	v_add_co_u32_e32 v2, vcc, v10, v2
	v_addc_co_u32_e32 v3, vcc, v11, v3, vcc
	flat_load_dwordx2 v[2:3], v[2:3]
	v_cmp_eq_u32_e32 vcc, 0, v5
	s_waitcnt vmcnt(0) lgkmcnt(0)
	v_mad_u64_u32 v[2:3], s[4:5], v6, s4, v[2:3]
	flat_load_dwordx2 a[20:21], v[2:3]
	flat_load_dwordx2 v[16:17], v[2:3] offset:104
	v_cndmask_b32_e32 v25, 0, v3, vcc
	v_cndmask_b32_e32 v24, 0, v2, vcc
	s_branch .LBB4_14
.LBB4_13:
                                        ; implicit-def: $vgpr16_vgpr17
                                        ; implicit-def: $agpr20_agpr21
.LBB4_14:
	v_subrev_u32_e32 v2, 64, v20
	v_mov_b32_e32 v6, v0
	v_pk_mov_b32 v[12:13], 0, 0
	v_cmp_le_i32_e32 vcc, v2, v6
	v_cmp_gt_u32_e64 s[4:5], s6, v5
	v_accvgpr_write_b32 a23, v13
	s_and_b64 s[24:25], vcc, s[4:5]
	v_accvgpr_write_b32 a22, v12
                                        ; implicit-def: $vgpr38_vgpr39
	s_and_saveexec_b64 s[4:5], s[24:25]
	s_cbranch_execz .LBB4_16
; %bb.15:
	flat_load_dwordx2 a[22:23], v[28:29] offset:56
	flat_load_dwordx2 v[38:39], v[28:29] offset:104
.LBB4_16:
	s_or_b64 exec, exec, s[4:5]
	v_mov_b32_e32 v2, v0
	v_cmp_gt_i32_e64 s[4:5], s6, v2
	v_pk_mov_b32 v[32:33], v[12:13], v[12:13] op_sel:[0,1]
                                        ; implicit-def: $vgpr52_vgpr53
	s_and_saveexec_b64 s[6:7], s[4:5]
	s_cbranch_execz .LBB4_18
; %bb.17:
	flat_load_dwordx2 v[32:33], v[24:25] offset:56
	s_waitcnt vmcnt(0) lgkmcnt(0)
	flat_load_dwordx2 v[52:53], v[32:33] glc
	s_waitcnt vmcnt(0)
	flat_load_dwordx4 v[12:15], v[24:25] offset:96
.LBB4_18:
	s_or_b64 exec, exec, s[6:7]
	v_accvgpr_read_b32 v51, a5
	v_accvgpr_read_b32 v50, a4
	;; [unrolled: 1-line block ×4, first 2 shown]
	v_cmp_ne_u64_e32 vcc, 0, v[50:51]
	v_pk_mov_b32 v[42:43], 0, 0
	s_and_saveexec_b64 s[26:27], vcc
	s_cbranch_execz .LBB4_980
; %bb.19:
	v_add_co_u32_e32 v1, vcc, v22, v48
	s_ashr_i32 s6, s8, 31
	v_addc_co_u32_e32 v2, vcc, v23, v49, vcc
	s_lshr_b32 s6, s6, 29
	v_add_co_u32_e32 v1, vcc, v1, v18
	s_ashr_i32 s23, s22, 31
	s_add_i32 s8, s8, s6
	v_accvgpr_write_b32 a3, v1
	v_addc_co_u32_e32 v1, vcc, v2, v4, vcc
	s_lshl_b64 s[6:7], s[22:23], 2
	v_accvgpr_write_b32 a26, v1
	v_mov_b32_e32 v1, s7
	v_add_co_u32_e32 v2, vcc, s6, v60
	v_addc_co_u32_e32 v1, vcc, v61, v1, vcc
	v_add_co_u32_e32 v2, vcc, -4, v2
	v_mov_b32_e32 v55, 0
	v_addc_co_u32_e32 v3, vcc, -1, v1, vcc
	v_and_b32_e32 v6, 0x1fffff0, v26
	v_mov_b32_e32 v7, v55
	v_accvgpr_write_b32 a29, v3
	v_and_b32_e32 v1, 63, v31
	v_ashrrev_i32_e32 v21, 31, v20
	v_pk_mov_b32 v[18:19], v[6:7], v[6:7] op_sel:[0,1]
	v_accvgpr_write_b32 a28, v2
	v_cmp_eq_u32_e64 s[12:13], 0, v1
	v_lshrrev_b32_e32 v1, 26, v21
	v_mov_b32_e32 v2, v0
	v_accvgpr_read_b32 v4, a10
	v_add_u32_e32 v1, v20, v1
	v_lshlrev_b32_e32 v10, 3, v2
	v_accvgpr_read_b32 v6, a12
	v_and_b32_e32 v0, 1, v8
	v_ashrrev_i32_e32 v22, 6, v1
	v_ashrrev_i32_e32 v3, 31, v10
	v_accvgpr_read_b32 v7, a13
	v_add_co_u32_e32 v6, vcc, v6, v10
	v_cmp_eq_u32_e64 s[14:15], 1, v0
	s_waitcnt vmcnt(0) lgkmcnt(0)
	v_accvgpr_read_b32 v0, a22
	v_addc_co_u32_e32 v7, vcc, v7, v3, vcc
	v_accvgpr_read_b32 v1, a23
	v_accvgpr_read_b32 v5, a11
	v_cmp_ne_u64_e64 s[16:17], 0, v[0:1]
	v_add_co_u32_e32 v0, vcc, v4, v10
	v_accvgpr_write_b32 a34, v0
	v_addc_co_u32_e32 v0, vcc, v5, v3, vcc
	v_accvgpr_write_b32 a35, v0
	v_accvgpr_read_b32 v0, a8
	v_accvgpr_read_b32 v1, a9
	v_add_co_u32_e32 v0, vcc, v6, v0
	v_addc_co_u32_e32 v1, vcc, v7, v1, vcc
	v_accvgpr_write_b32 a27, v3
	v_accvgpr_write_b32 a37, v1
	v_ashrrev_i32_e32 v3, 31, v2
	s_ashr_i32 s10, s8, 3
	v_accvgpr_write_b32 a36, v0
	v_accvgpr_write_b32 a2, v2
	v_lshlrev_b64 v[0:1], 4, v[2:3]
	v_accvgpr_read_b32 v2, a20
	s_ashr_i32 s62, s8, 7
	s_and_b32 s23, s10, -16
	v_accvgpr_read_b32 v3, a21
	v_add_co_u32_e32 v0, vcc, v2, v0
	v_accvgpr_write_b32 a16, v28
	v_accvgpr_write_b32 a14, v24
	;; [unrolled: 1-line block ×3, first 2 shown]
	s_cmp_gt_i32 s22, 2
	v_lshlrev_b32_e32 v31, 6, v20
	v_accvgpr_write_b32 a39, v0
	v_addc_co_u32_e32 v0, vcc, v3, v1, vcc
	s_mov_b32 s38, -1
	v_ashrrev_i32_e32 v1, 31, v22
	v_lshlrev_b32_e32 v56, 3, v20
	v_pk_mov_b32 v[36:37], 0, 0
	v_accvgpr_write_b32 a10, v32
	v_accvgpr_write_b32 a17, v29
	v_accvgpr_write_b32 a15, v25
	s_mov_b64 s[28:29], 0
	v_cmp_ne_u64_e64 s[6:7], 0, v[32:33]
	v_cmp_ne_u64_e64 s[8:9], 0, v[12:13]
	v_cmp_ne_u32_e64 s[10:11], 64, v20
	v_accvgpr_write_b32 a1, v9
	v_cmp_ne_u32_sdwa s[30:31], v9, v20 src0_sel:WORD_0 src1_sel:DWORD
	s_cselect_b64 s[34:35], -1, 0
	v_accvgpr_write_b32 a32, v10
	v_accvgpr_write_b32 a31, v6
	;; [unrolled: 1-line block ×4, first 2 shown]
	s_movk_i32 s63, 0x2710
	s_mov_b64 s[36:37], 0x7ffffff8
	s_movk_i32 s64, 0xff
	s_movk_i32 s65, 0xff80
	;; [unrolled: 1-line block ×3, first 2 shown]
	s_brev_b32 s67, 1
	s_mov_b32 s39, 0xffffff
	s_movk_i32 s68, 0x80
	s_mov_b64 s[40:41], 0x7f800000
	s_mov_b64 s[42:43], 0x47600001
	s_movk_i32 s69, 0x72
	s_mov_b64 s[44:45], 0xffffff
	s_movk_i32 s70, 0x7f
	s_mov_b32 s71, 0x7c0000
	s_brev_b32 s72, 62
	s_mov_b32 s73, 0xc0c0500
	s_mov_b32 s74, 0x4020c0c
	;; [unrolled: 1-line block ×5, first 2 shown]
	v_bfrev_b32_e32 v47, 28
	v_mov_b32_e32 v6, -1
	v_mov_b32_e32 v7, 0xc7600000
	v_mov_b32_e32 v10, 0x47600000
	;; [unrolled: 1-line block ×6, first 2 shown]
	v_accvgpr_write_b32 a30, v22
	v_accvgpr_write_b32 a41, v1
	v_ashrrev_i32_e32 v57, 31, v56
	v_lshlrev_b64 v[58:59], 4, v[20:21]
	v_pk_mov_b32 v[42:43], v[36:37], v[36:37] op_sel:[0,1]
	v_pk_mov_b32 v[4:5], v[50:51], v[50:51] op_sel:[0,1]
	v_accvgpr_write_b32 a11, v33
	v_accvgpr_write_b32 a38, v31
	s_branch .LBB4_21
.LBB4_20:                               ;   in Loop: Header=BB4_21 Depth=1
	s_or_b64 exec, exec, s[18:19]
	v_add_co_u32_e32 v34, vcc, 1, v34
	v_addc_co_u32_e32 v35, vcc, 0, v35, vcc
	v_add_co_u32_e32 v36, vcc, v36, v18
	v_addc_co_u32_e32 v37, vcc, 0, v37, vcc
	v_cmp_ge_u64_e32 vcc, v[36:37], v[4:5]
	v_accvgpr_read_b32 v0, a36
	s_or_b64 s[28:29], vcc, s[28:29]
	v_accvgpr_read_b32 v1, a37
	v_add_co_u32_e32 v0, vcc, v0, v18
	v_addc_co_u32_e32 v1, vcc, 0, v1, vcc
	v_accvgpr_write_b32 a37, v1
	v_accvgpr_write_b32 a36, v0
	s_andn2_b64 exec, exec, s[28:29]
	s_cbranch_execz .LBB4_979
.LBB4_21:                               ; =>This Loop Header: Depth=1
                                        ;     Child Loop BB4_28 Depth 2
                                        ;     Child Loop BB4_45 Depth 2
	;; [unrolled: 1-line block ×5, first 2 shown]
                                        ;       Child Loop BB4_85 Depth 3
                                        ;       Child Loop BB4_101 Depth 3
	;; [unrolled: 1-line block ×3, first 2 shown]
                                        ;         Child Loop BB4_122 Depth 4
                                        ;       Child Loop BB4_522 Depth 3
                                        ;       Child Loop BB4_78 Depth 3
                                        ;     Child Loop BB4_539 Depth 2
                                        ;       Child Loop BB4_547 Depth 3
                                        ;     Child Loop BB4_966 Depth 2
	v_accvgpr_read_b32 v0, a28
	v_accvgpr_read_b32 v1, a29
	s_waitcnt vmcnt(0) lgkmcnt(0)
	flat_load_dword v2, v[0:1]
	v_sub_co_u32_e32 v0, vcc, v4, v36
	v_subb_co_u32_e32 v1, vcc, v5, v37, vcc
	v_cmp_lt_u64_e32 vcc, v[18:19], v[0:1]
	v_cndmask_b32_e32 v3, v0, v18, vcc
	v_lshl_add_u32 v0, v3, 1, 14
	v_and_b32_e32 v0, 0x7fffff0, v0
	v_accvgpr_write_b32 a44, v0
	s_and_saveexec_b64 s[18:19], s[6:7]
	s_cbranch_execz .LBB4_37
; %bb.22:                               ;   in Loop: Header=BB4_21 Depth=1
	v_add_co_u32_e32 v0, vcc, 1, v14
	v_addc_co_u32_e32 v1, vcc, 0, v15, vcc
	v_add_co_u32_e32 v4, vcc, 8, v52
	v_addc_co_u32_e32 v5, vcc, 0, v53, vcc
	v_cmp_lt_u64_e32 vcc, v[4:5], v[0:1]
	s_and_saveexec_b64 s[20:21], vcc
	s_cbranch_execz .LBB4_34
; %bb.23:                               ;   in Loop: Header=BB4_21 Depth=1
	s_sleep 1
	flat_load_dwordx2 v[52:53], v[32:33] glc
	v_cmp_eq_u32_e32 vcc, 0, v49
	s_and_saveexec_b64 s[46:47], vcc
	s_cbranch_execz .LBB4_33
; %bb.24:                               ;   in Loop: Header=BB4_21 Depth=1
	v_cndmask_b32_e64 v4, 0, 1, vcc
	s_mov_b64 s[48:49], 0
                                        ; implicit-def: $sgpr50_sgpr51
	s_branch .LBB4_28
.LBB4_25:                               ;   in Loop: Header=BB4_28 Depth=2
	s_or_b64 exec, exec, s[58:59]
	s_orn2_b64 s[56:57], s[56:57], exec
.LBB4_26:                               ;   in Loop: Header=BB4_28 Depth=2
	s_or_b64 exec, exec, s[54:55]
	s_xor_b64 vcc, s[56:57], -1
	s_andn2_b64 s[50:51], s[50:51], exec
	s_and_b64 vcc, vcc, exec
	s_or_b64 s[50:51], s[50:51], vcc
.LBB4_27:                               ;   in Loop: Header=BB4_28 Depth=2
	s_or_b64 exec, exec, s[52:53]
	s_and_b64 vcc, exec, s[50:51]
	s_or_b64 s[48:49], vcc, s[48:49]
	s_andn2_b64 exec, exec, s[48:49]
	s_cbranch_execz .LBB4_32
.LBB4_28:                               ;   Parent Loop BB4_21 Depth=1
                                        ; =>  This Inner Loop Header: Depth=2
	s_waitcnt vmcnt(0) lgkmcnt(0)
	v_add_co_u32_e32 v8, vcc, 8, v52
	v_addc_co_u32_e32 v9, vcc, 0, v53, vcc
	v_cmp_lt_u64_e32 vcc, v[8:9], v[0:1]
	v_mov_b32_e32 v49, 0
	s_or_b64 s[50:51], s[50:51], exec
	s_and_saveexec_b64 s[52:53], vcc
	s_cbranch_execz .LBB4_27
; %bb.29:                               ;   in Loop: Header=BB4_28 Depth=2
	s_sleep 1
	flat_load_dwordx2 v[52:53], v[32:33] glc
	v_add_u32_e32 v4, 1, v4
	v_cmp_eq_u32_e32 vcc, s63, v4
	s_mov_b64 s[56:57], -1
	v_mov_b32_e32 v49, 0
	s_and_saveexec_b64 s[54:55], vcc
	s_cbranch_execz .LBB4_26
; %bb.30:                               ;   in Loop: Header=BB4_28 Depth=2
	s_trap 2
	ds_read_b64 v[4:5], v0
	v_mov_b32_e32 v49, 0
	s_waitcnt vmcnt(0) lgkmcnt(0)
	flat_load_dword v5, v[4:5] glc
	s_waitcnt vmcnt(0) lgkmcnt(0)
	buffer_invl2
	buffer_wbinvl1_vol
	v_mov_b32_e32 v4, 0
	v_cmp_ne_u32_e32 vcc, 0, v5
	s_and_saveexec_b64 s[58:59], vcc
	s_cbranch_execz .LBB4_25
; %bb.31:                               ;   in Loop: Header=BB4_28 Depth=2
	v_mov_b32_e32 v49, 1
	s_xor_b64 s[56:57], exec, -1
	ds_write_b32 v0, v5
	s_trap 2
	s_branch .LBB4_25
.LBB4_32:                               ;   in Loop: Header=BB4_21 Depth=1
	s_or_b64 exec, exec, s[48:49]
.LBB4_33:                               ;   in Loop: Header=BB4_21 Depth=1
	s_or_b64 exec, exec, s[46:47]
.LBB4_34:                               ;   in Loop: Header=BB4_21 Depth=1
	s_or_b64 exec, exec, s[20:21]
	s_and_saveexec_b64 s[20:21], s[8:9]
	s_cbranch_execz .LBB4_36
; %bb.35:                               ;   in Loop: Header=BB4_21 Depth=1
	v_and_b32_e32 v54, 0x7ffffff8, v14
	v_mov_b32_e32 v4, s23
	v_cmp_eq_u64_e32 vcc, s[36:37], v[54:55]
	v_accvgpr_read_b32 v5, a44
	v_cndmask_b32_e32 v4, v5, v4, vcc
	v_and_b32_e32 v8, 7, v14
	v_ashrrev_i32_e32 v5, 31, v4
	v_mad_u64_u32 v[8:9], vcc, v8, 24, v[12:13]
	flat_store_dwordx2 v[8:9], v[4:5] offset:8
	s_waitcnt vmcnt(0)
.LBB4_36:                               ;   in Loop: Header=BB4_21 Depth=1
	s_or_b64 exec, exec, s[20:21]
	v_pk_mov_b32 v[14:15], v[0:1], v[0:1] op_sel:[0,1]
.LBB4_37:                               ;   in Loop: Header=BB4_21 Depth=1
	s_or_b64 exec, exec, s[18:19]
	s_and_saveexec_b64 s[18:19], s[10:11]
	s_cbranch_execz .LBB4_56
; %bb.38:                               ;   in Loop: Header=BB4_21 Depth=1
	s_and_saveexec_b64 s[20:21], s[30:31]
	s_xor_b64 s[20:21], exec, s[20:21]
	s_cbranch_execz .LBB4_53
; %bb.39:                               ;   in Loop: Header=BB4_21 Depth=1
	s_and_saveexec_b64 s[46:47], s[12:13]
	s_cbranch_execz .LBB4_52
; %bb.40:                               ;   in Loop: Header=BB4_21 Depth=1
	s_mov_b64 s[50:51], exec
	v_mbcnt_lo_u32_b32 v0, s50, 0
	v_mbcnt_hi_u32_b32 v0, s51, v0
	v_cmp_eq_u32_e32 vcc, 0, v0
	s_waitcnt vmcnt(0) lgkmcnt(0)
	buffer_wbinvl1_vol
	s_and_saveexec_b64 s[48:49], vcc
	s_cbranch_execz .LBB4_42
; %bb.41:                               ;   in Loop: Header=BB4_21 Depth=1
	s_bcnt1_i32_b64 vcc_lo, s[50:51]
	v_mov_b32_e32 v54, vcc_lo
	ds_add_u64 v0, v[54:55]
	s_trap 2
.LBB4_42:                               ;   in Loop: Header=BB4_21 Depth=1
	s_or_b64 exec, exec, s[48:49]
	s_trap 2
	ds_read_b64 v[0:1], v0
	v_accvgpr_read_b32 v4, a30
	v_add_co_u32_e32 v42, vcc, v42, v4
	v_accvgpr_read_b32 v5, a41
	v_addc_co_u32_e32 v43, vcc, v43, v5, vcc
	s_waitcnt lgkmcnt(0)
	v_cmp_lt_u64_e32 vcc, v[0:1], v[42:43]
	s_and_saveexec_b64 s[48:49], vcc
	s_cbranch_execz .LBB4_51
; %bb.43:                               ;   in Loop: Header=BB4_21 Depth=1
	s_mov_b32 s60, 0
	s_mov_b64 s[50:51], 0
                                        ; implicit-def: $sgpr52_sgpr53
                                        ; implicit-def: $sgpr54_sgpr55
	s_branch .LBB4_45
.LBB4_44:                               ;   in Loop: Header=BB4_45 Depth=2
	s_or_b64 exec, exec, s[58:59]
	s_and_b64 vcc, exec, vcc
	s_or_b64 s[50:51], vcc, s[50:51]
	s_andn2_b64 vcc, s[52:53], exec
	s_and_b64 s[52:53], s[54:55], exec
	s_or_b64 s[52:53], vcc, s[52:53]
	s_andn2_b64 exec, exec, s[50:51]
	s_cbranch_execz .LBB4_49
.LBB4_45:                               ;   Parent Loop BB4_21 Depth=1
                                        ; =>  This Inner Loop Header: Depth=2
	s_add_i32 s60, s60, 1
	s_cmpk_lg_i32 s60, 0x2710
	s_cselect_b64 s[56:57], -1, 0
	s_and_b64 vcc, exec, s[56:57]
                                        ; implicit-def: $sgpr58_sgpr59
	s_cbranch_vccnz .LBB4_47
; %bb.46:                               ;   in Loop: Header=BB4_45 Depth=2
	s_trap 2
	ds_read_b64 v[0:1], v0
	s_andn2_b64 s[56:57], s[56:57], exec
	s_mov_b32 s60, 0
	s_mov_b64 s[58:59], -1
	s_waitcnt lgkmcnt(0)
	flat_load_dword v0, v[0:1] glc
	s_waitcnt vmcnt(0) lgkmcnt(0)
	buffer_invl2
	buffer_wbinvl1_vol
	v_cmp_eq_u32_e32 vcc, 0, v0
	s_and_b64 vcc, vcc, exec
	s_or_b64 s[56:57], s[56:57], vcc
.LBB4_47:                               ;   in Loop: Header=BB4_45 Depth=2
	s_andn2_b64 s[54:55], s[54:55], exec
	s_and_b64 s[58:59], s[58:59], exec
	s_mov_b64 vcc, -1
	s_or_b64 s[54:55], s[54:55], s[58:59]
	s_and_saveexec_b64 s[58:59], s[56:57]
	s_cbranch_execz .LBB4_44
; %bb.48:                               ;   in Loop: Header=BB4_45 Depth=2
	s_sleep 1
	s_trap 2
	ds_read_b64 v[0:1], v0
	s_andn2_b64 s[54:55], s[54:55], exec
	s_waitcnt lgkmcnt(0)
	v_cmp_ge_u64_e32 vcc, v[0:1], v[42:43]
	s_orn2_b64 vcc, vcc, exec
	s_branch .LBB4_44
.LBB4_49:                               ;   in Loop: Header=BB4_21 Depth=1
	s_or_b64 exec, exec, s[50:51]
	s_and_saveexec_b64 vcc, s[52:53]
	s_xor_b64 vcc, exec, vcc
	s_cbranch_execz .LBB4_51
; %bb.50:                               ;   in Loop: Header=BB4_21 Depth=1
	v_mov_b32_e32 v0, 1
	ds_write_b32 v0, v0
	s_trap 2
.LBB4_51:                               ;   in Loop: Header=BB4_21 Depth=1
	s_or_b64 exec, exec, s[48:49]
	;;#ASMSTART
	s_wakeup
	;;#ASMEND
.LBB4_52:                               ;   in Loop: Header=BB4_21 Depth=1
	s_or_b64 exec, exec, s[46:47]
.LBB4_53:                               ;   in Loop: Header=BB4_21 Depth=1
	s_andn2_saveexec_b64 s[20:21], s[20:21]
	s_cbranch_execz .LBB4_55
; %bb.54:                               ;   in Loop: Header=BB4_21 Depth=1
	s_waitcnt vmcnt(0) lgkmcnt(0)
	buffer_wbinvl1_vol
	s_barrier
.LBB4_55:                               ;   in Loop: Header=BB4_21 Depth=1
	s_or_b64 exec, exec, s[20:21]
.LBB4_56:                               ;   in Loop: Header=BB4_21 Depth=1
	s_or_b64 exec, exec, s[18:19]
	v_accvgpr_read_b32 v0, a32
	v_accvgpr_write_b32 a25, v19
	v_sub_u32_e32 v62, v3, v0
	v_accvgpr_write_b32 a24, v18
	v_cmp_lt_i32_e64 s[18:19], 0, v62
	v_and_b32_e32 v1, 7, v16
	v_accvgpr_read_b32 v0, a2
	s_and_saveexec_b64 s[20:21], s[18:19]
	s_cbranch_execz .LBB4_64
; %bb.57:                               ;   in Loop: Header=BB4_21 Depth=1
	v_accvgpr_read_b32 v22, a36
	s_waitcnt vmcnt(0) lgkmcnt(0)
	v_ashrrev_i32_e32 v0, 31, v2
	v_mov_b32_e32 v3, v16
	v_add_co_u32_e64 v8, vcc, 0, 0
	v_accvgpr_read_b32 v21, a3
	v_accvgpr_read_b32 v23, a37
	;; [unrolled: 1-line block ×3, first 2 shown]
	v_mul_lo_u32 v4, v1, s62
	v_addc_co_u32_e32 v3, vcc, 1, v3, vcc
	v_mad_u64_u32 v[18:19], vcc, v21, v2, v[22:23]
	v_mul_lo_u32 v9, v9, v2
	v_mul_lo_u32 v0, v21, v0
	v_ashrrev_i32_e32 v5, 31, v4
	v_add3_u32 v19, v9, v19, v0
	v_mul_lo_u32 v0, v21, v2
	v_add_lshl_u32 v9, v22, v0, 3
	v_lshlrev_b64 v[4:5], 4, v[4:5]
	v_accvgpr_read_b32 v0, a39
	v_add_co_u32_e32 v24, vcc, v0, v4
	v_accvgpr_read_b32 v0, a40
	v_addc_co_u32_e32 v25, vcc, v0, v5, vcc
	s_mov_b64 s[46:47], 0
	v_mov_b32_e32 v21, v62
	v_accvgpr_read_b32 v0, a2
	s_branch .LBB4_59
.LBB4_58:                               ;   in Loop: Header=BB4_59 Depth=2
	s_or_b64 exec, exec, s[48:49]
	v_add_co_u32_e32 v18, vcc, v18, v56
	s_waitcnt vmcnt(0)
	v_alignbit_b32 v2, v23, v2, v9
	v_alignbit_b32 v4, v22, v23, v9
	v_sub_u32_e32 v21, v21, v56
	v_addc_co_u32_e32 v19, vcc, v19, v57, vcc
	v_or_b32_e32 v2, v8, v2
	v_or_b32_e32 v4, v8, v4
	v_mov_b32_e32 v5, v3
	v_cmp_gt_i32_e32 vcc, 1, v21
	global_store_dwordx4 v[24:25], v[2:5], off
	s_or_b64 s[46:47], vcc, s[46:47]
	v_add_co_u32_e32 v24, vcc, v24, v58
	v_add_u32_e32 v0, v0, v20
	v_add_u32_e32 v9, v9, v31
	v_addc_co_u32_e32 v25, vcc, v25, v59, vcc
	s_andn2_b64 exec, exec, s[46:47]
	s_cbranch_execz .LBB4_63
.LBB4_59:                               ;   Parent Loop BB4_21 Depth=1
                                        ; =>  This Inner Loop Header: Depth=2
	v_and_b32_e32 v4, -4, v18
	v_mov_b32_e32 v5, v19
	global_load_dword v2, v[4:5], off glc slc
	v_min_u32_e32 v23, 8, v21
	v_and_b32_e32 v26, 3, v18
	v_add_co_u32_e32 v26, vcc, v26, v23
	v_addc_co_u32_e64 v27, vcc, 0, 0, vcc
	v_mov_b32_e32 v22, 0
	v_cmp_lt_u64_e32 vcc, 4, v[26:27]
	v_mov_b32_e32 v23, 0
	s_and_saveexec_b64 s[48:49], vcc
	s_cbranch_execz .LBB4_61
; %bb.60:                               ;   in Loop: Header=BB4_59 Depth=2
	global_load_dword v23, v[4:5], off offset:4 glc slc
.LBB4_61:                               ;   in Loop: Header=BB4_59 Depth=2
	s_or_b64 exec, exec, s[48:49]
	v_cmp_lt_u64_e32 vcc, 8, v[26:27]
	s_and_saveexec_b64 s[48:49], vcc
	s_cbranch_execz .LBB4_58
; %bb.62:                               ;   in Loop: Header=BB4_59 Depth=2
	global_load_dword v22, v[4:5], off offset:8 glc slc
	s_branch .LBB4_58
.LBB4_63:                               ;   in Loop: Header=BB4_21 Depth=1
	s_or_b64 exec, exec, s[46:47]
.LBB4_64:                               ;   in Loop: Header=BB4_21 Depth=1
	s_or_b64 exec, exec, s[20:21]
	v_and_b32_e32 v54, 0x7ffffff8, v16
	v_cmp_eq_u64_e32 vcc, s[36:37], v[54:55]
	v_cmp_gt_i32_e64 s[20:21], s62, v0
	s_and_b64 s[20:21], vcc, s[20:21]
	s_and_saveexec_b64 s[46:47], s[20:21]
	s_cbranch_execz .LBB4_67
; %bb.65:                               ;   in Loop: Header=BB4_21 Depth=1
	v_mul_lo_u32 v4, v1, s62
	v_mov_b32_e32 v1, v16
	s_waitcnt vmcnt(0) lgkmcnt(0)
	v_add_co_u32_e64 v2, vcc, 0, 0
	v_ashrrev_i32_e32 v5, 31, v4
	v_addc_co_u32_e32 v3, vcc, 1, v1, vcc
	v_ashrrev_i32_e32 v1, 31, v0
	v_lshlrev_b64 v[8:9], 4, v[0:1]
	v_lshlrev_b64 v[4:5], 4, v[4:5]
	v_add_co_u32_e32 v1, vcc, v8, v4
	v_addc_co_u32_e32 v4, vcc, v9, v5, vcc
	v_accvgpr_read_b32 v8, a20
	v_accvgpr_read_b32 v9, a21
	v_add_co_u32_e32 v18, vcc, v8, v1
	v_addc_co_u32_e32 v19, vcc, v9, v4, vcc
	s_mov_b64 s[48:49], 0
.LBB4_66:                               ;   Parent Loop BB4_21 Depth=1
                                        ; =>  This Inner Loop Header: Depth=2
	v_mov_b32_e32 v4, v2
	v_mov_b32_e32 v5, v3
	v_add_u32_e32 v0, v0, v20
	global_store_dwordx4 v[18:19], v[2:5], off
	v_cmp_le_i32_e32 vcc, s62, v0
	v_add_co_u32_e64 v18, s[20:21], v18, v58
	s_or_b64 s[48:49], vcc, s[48:49]
	v_addc_co_u32_e64 v19, vcc, v19, v59, s[20:21]
	s_andn2_b64 exec, exec, s[48:49]
	s_cbranch_execnz .LBB4_66
.LBB4_67:                               ;   in Loop: Header=BB4_21 Depth=1
	s_or_b64 exec, exec, s[46:47]
	v_accvgpr_read_b32 v0, a8
	v_accvgpr_read_b32 v1, a9
	s_waitcnt vmcnt(0) lgkmcnt(0)
	v_add_co_u32_e32 v2, vcc, v36, v0
	v_addc_co_u32_e32 v1, vcc, v37, v1, vcc
	v_add_co_u32_e64 v28, s[20:21], 1, v16
	v_accvgpr_write_b32 a43, v37
	s_andn2_b64 vcc, exec, s[34:35]
	v_addc_co_u32_e64 v29, s[20:21], 0, v17, s[20:21]
	v_accvgpr_write_b32 a42, v36
	s_cbranch_vccnz .LBB4_533
; %bb.68:                               ;   in Loop: Header=BB4_21 Depth=1
	v_accvgpr_read_b32 v0, a31
	v_accvgpr_write_b32 a45, v2
	v_add_co_u32_e32 v2, vcc, v0, v2
	v_accvgpr_read_b32 v0, a33
	v_addc_co_u32_e32 v3, vcc, v0, v1, vcc
	v_accvgpr_write_b32 a49, v3
	v_accvgpr_write_b32 a46, v1
	;; [unrolled: 1-line block ×3, first 2 shown]
	v_add_u16_e32 v31, 1, v16
	s_mov_b32 s78, 2
	s_branch .LBB4_70
.LBB4_69:                               ;   in Loop: Header=BB4_70 Depth=2
	s_or_b64 exec, exec, s[46:47]
	v_add_co_u32_e32 v34, vcc, 1, v34
	v_addc_co_u32_e32 v35, vcc, 0, v35, vcc
	s_add_i32 s78, s78, 1
	v_add_co_u32_e32 v28, vcc, 1, v28
	v_addc_co_u32_e32 v29, vcc, 0, v29, vcc
	s_cmp_eq_u32 s78, s22
	v_add_u16_e32 v31, 1, v31
	s_cbranch_scc1 .LBB4_534
.LBB4_70:                               ;   Parent Loop BB4_21 Depth=1
                                        ; =>  This Loop Header: Depth=2
                                        ;       Child Loop BB4_85 Depth 3
                                        ;       Child Loop BB4_101 Depth 3
	;; [unrolled: 1-line block ×3, first 2 shown]
                                        ;         Child Loop BB4_122 Depth 4
                                        ;       Child Loop BB4_522 Depth 3
                                        ;       Child Loop BB4_78 Depth 3
	s_sub_i32 s20, s22, s78
	s_ashr_i32 s21, s20, 31
	s_lshl_b64 s[20:21], s[20:21], 2
	v_mov_b32_e32 v1, s21
	v_add_co_u32_e32 v0, vcc, s20, v60
	v_addc_co_u32_e32 v1, vcc, v61, v1, vcc
	s_waitcnt vmcnt(0) lgkmcnt(0)
	flat_load_dword v2, v[0:1]
	s_and_saveexec_b64 s[20:21], s[6:7]
	s_cbranch_execnz .LBB4_79
; %bb.71:                               ;   in Loop: Header=BB4_70 Depth=2
	s_or_b64 exec, exec, s[20:21]
	s_and_saveexec_b64 s[20:21], s[10:11]
	s_cbranch_execnz .LBB4_94
.LBB4_72:                               ;   in Loop: Header=BB4_70 Depth=2
	s_or_b64 exec, exec, s[20:21]
	v_accvgpr_read_b32 v0, a2
	s_and_saveexec_b64 s[46:47], s[18:19]
	s_cbranch_execnz .LBB4_112
.LBB4_73:                               ;   in Loop: Header=BB4_70 Depth=2
	s_or_b64 exec, exec, s[46:47]
	s_and_saveexec_b64 s[20:21], s[10:11]
	s_cbranch_execnz .LBB4_515
.LBB4_74:                               ;   in Loop: Header=BB4_70 Depth=2
	s_or_b64 exec, exec, s[20:21]
	s_and_saveexec_b64 s[20:21], s[16:17]
	s_cbranch_execz .LBB4_76
.LBB4_75:                               ;   in Loop: Header=BB4_70 Depth=2
	v_add_co_u32_e32 v38, vcc, 1, v38
	s_waitcnt vmcnt(0) lgkmcnt(0)
	v_accvgpr_read_b32 v2, a22
	v_addc_co_u32_e32 v39, vcc, 0, v39, vcc
	v_accvgpr_read_b32 v3, a23
	flat_store_dwordx2 v[2:3], v[38:39]
.LBB4_76:                               ;   in Loop: Header=BB4_70 Depth=2
	s_or_b64 exec, exec, s[20:21]
	v_and_b32_e32 v54, 0x7ffffff8, v28
	v_cmp_eq_u64_e32 vcc, s[36:37], v[54:55]
	v_cmp_gt_i32_e64 s[20:21], s62, v0
	s_and_b64 s[20:21], vcc, s[20:21]
	s_and_saveexec_b64 s[46:47], s[20:21]
	s_cbranch_execz .LBB4_69
; %bb.77:                               ;   in Loop: Header=BB4_70 Depth=2
	v_and_b32_e32 v1, 7, v31
	s_waitcnt vmcnt(0) lgkmcnt(0)
	v_mul_lo_u32 v2, s62, v1
	v_ashrrev_i32_e32 v3, 31, v2
	v_lshlrev_b64 v[4:5], 4, v[2:3]
	v_mov_b32_e32 v1, v28
	v_add_co_u32_e64 v2, vcc, 0, 0
	v_addc_co_u32_e32 v3, vcc, 1, v1, vcc
	v_ashrrev_i32_e32 v1, 31, v0
	v_lshlrev_b64 v[8:9], 4, v[0:1]
	v_add_co_u32_e32 v1, vcc, v8, v4
	v_addc_co_u32_e32 v4, vcc, v9, v5, vcc
	v_accvgpr_read_b32 v8, a20
	v_accvgpr_read_b32 v9, a21
	v_add_co_u32_e32 v16, vcc, v8, v1
	v_addc_co_u32_e32 v17, vcc, v9, v4, vcc
	s_mov_b64 s[48:49], 0
.LBB4_78:                               ;   Parent Loop BB4_21 Depth=1
                                        ;     Parent Loop BB4_70 Depth=2
                                        ; =>    This Inner Loop Header: Depth=3
	v_mov_b32_e32 v4, v2
	v_mov_b32_e32 v5, v3
	v_add_u32_e32 v0, v0, v20
	global_store_dwordx4 v[16:17], v[2:5], off
	v_cmp_le_i32_e32 vcc, s62, v0
	v_add_co_u32_e64 v16, s[20:21], v16, v58
	s_or_b64 s[48:49], vcc, s[48:49]
	v_addc_co_u32_e64 v17, vcc, v17, v59, s[20:21]
	s_andn2_b64 exec, exec, s[48:49]
	s_cbranch_execnz .LBB4_78
	s_branch .LBB4_69
.LBB4_79:                               ;   in Loop: Header=BB4_70 Depth=2
	v_add_co_u32_e32 v0, vcc, 1, v14
	v_addc_co_u32_e32 v1, vcc, 0, v15, vcc
	v_add_co_u32_e32 v4, vcc, 8, v52
	v_addc_co_u32_e32 v5, vcc, 0, v53, vcc
	v_cmp_lt_u64_e32 vcc, v[4:5], v[0:1]
	s_and_saveexec_b64 s[46:47], vcc
	s_cbranch_execz .LBB4_91
; %bb.80:                               ;   in Loop: Header=BB4_70 Depth=2
	s_sleep 1
	flat_load_dwordx2 v[52:53], v[32:33] glc
	v_cmp_eq_u32_e32 vcc, 0, v49
	s_and_saveexec_b64 s[48:49], vcc
	s_cbranch_execz .LBB4_90
; %bb.81:                               ;   in Loop: Header=BB4_70 Depth=2
	v_cndmask_b32_e64 v3, 0, 1, vcc
	s_mov_b64 s[50:51], 0
                                        ; implicit-def: $sgpr52_sgpr53
	s_branch .LBB4_85
.LBB4_82:                               ;   in Loop: Header=BB4_85 Depth=3
	s_or_b64 exec, exec, s[60:61]
	s_orn2_b64 s[58:59], s[58:59], exec
.LBB4_83:                               ;   in Loop: Header=BB4_85 Depth=3
	s_or_b64 exec, exec, s[56:57]
	s_xor_b64 vcc, s[58:59], -1
	s_andn2_b64 s[52:53], s[52:53], exec
	s_and_b64 vcc, vcc, exec
	s_or_b64 s[52:53], s[52:53], vcc
.LBB4_84:                               ;   in Loop: Header=BB4_85 Depth=3
	s_or_b64 exec, exec, s[54:55]
	s_and_b64 vcc, exec, s[52:53]
	s_or_b64 s[50:51], vcc, s[50:51]
	s_andn2_b64 exec, exec, s[50:51]
	s_cbranch_execz .LBB4_89
.LBB4_85:                               ;   Parent Loop BB4_21 Depth=1
                                        ;     Parent Loop BB4_70 Depth=2
                                        ; =>    This Inner Loop Header: Depth=3
	s_waitcnt vmcnt(0) lgkmcnt(0)
	v_add_co_u32_e32 v4, vcc, 8, v52
	v_addc_co_u32_e32 v5, vcc, 0, v53, vcc
	v_cmp_lt_u64_e32 vcc, v[4:5], v[0:1]
	v_mov_b32_e32 v49, 0
	s_or_b64 s[52:53], s[52:53], exec
	s_and_saveexec_b64 s[54:55], vcc
	s_cbranch_execz .LBB4_84
; %bb.86:                               ;   in Loop: Header=BB4_85 Depth=3
	s_sleep 1
	flat_load_dwordx2 v[52:53], v[32:33] glc
	v_add_u32_e32 v3, 1, v3
	v_cmp_eq_u32_e32 vcc, s63, v3
	s_mov_b64 s[58:59], -1
	v_mov_b32_e32 v49, 0
	s_and_saveexec_b64 s[56:57], vcc
	s_cbranch_execz .LBB4_83
; %bb.87:                               ;   in Loop: Header=BB4_85 Depth=3
	s_trap 2
	ds_read_b64 v[4:5], v0
	v_mov_b32_e32 v3, 0
	v_mov_b32_e32 v49, 0
	s_waitcnt vmcnt(0) lgkmcnt(0)
	flat_load_dword v4, v[4:5] glc
	s_waitcnt vmcnt(0) lgkmcnt(0)
	buffer_invl2
	buffer_wbinvl1_vol
	v_cmp_ne_u32_e32 vcc, 0, v4
	s_and_saveexec_b64 s[60:61], vcc
	s_cbranch_execz .LBB4_82
; %bb.88:                               ;   in Loop: Header=BB4_85 Depth=3
	v_mov_b32_e32 v49, 1
	s_xor_b64 s[58:59], exec, -1
	ds_write_b32 v0, v4
	s_trap 2
	s_branch .LBB4_82
.LBB4_89:                               ;   in Loop: Header=BB4_70 Depth=2
	s_or_b64 exec, exec, s[50:51]
.LBB4_90:                               ;   in Loop: Header=BB4_70 Depth=2
	s_or_b64 exec, exec, s[48:49]
.LBB4_91:                               ;   in Loop: Header=BB4_70 Depth=2
	s_or_b64 exec, exec, s[46:47]
	s_and_saveexec_b64 s[46:47], s[8:9]
	s_cbranch_execz .LBB4_93
; %bb.92:                               ;   in Loop: Header=BB4_70 Depth=2
	v_and_b32_e32 v54, 0x7ffffff8, v14
	v_mov_b32_e32 v3, s23
	v_cmp_eq_u64_e32 vcc, s[36:37], v[54:55]
	v_accvgpr_read_b32 v4, a44
	v_cndmask_b32_e32 v4, v4, v3, vcc
	v_and_b32_e32 v3, 7, v14
	v_ashrrev_i32_e32 v5, 31, v4
	v_mad_u64_u32 v[8:9], vcc, v3, 24, v[12:13]
	flat_store_dwordx2 v[8:9], v[4:5] offset:8
	s_waitcnt vmcnt(0)
.LBB4_93:                               ;   in Loop: Header=BB4_70 Depth=2
	s_or_b64 exec, exec, s[46:47]
	v_pk_mov_b32 v[14:15], v[0:1], v[0:1] op_sel:[0,1]
	s_or_b64 exec, exec, s[20:21]
	s_and_saveexec_b64 s[20:21], s[10:11]
	s_cbranch_execz .LBB4_72
.LBB4_94:                               ;   in Loop: Header=BB4_70 Depth=2
	s_and_saveexec_b64 vcc, s[30:31]
	s_xor_b64 s[46:47], exec, vcc
	s_cbranch_execz .LBB4_109
; %bb.95:                               ;   in Loop: Header=BB4_70 Depth=2
	s_and_saveexec_b64 s[48:49], s[12:13]
	s_cbranch_execz .LBB4_108
; %bb.96:                               ;   in Loop: Header=BB4_70 Depth=2
	s_mov_b64 s[52:53], exec
	v_mbcnt_lo_u32_b32 v0, s52, 0
	v_mbcnt_hi_u32_b32 v0, s53, v0
	v_cmp_eq_u32_e32 vcc, 0, v0
	s_waitcnt vmcnt(0) lgkmcnt(0)
	buffer_wbinvl1_vol
	s_and_saveexec_b64 s[50:51], vcc
	s_cbranch_execz .LBB4_98
; %bb.97:                               ;   in Loop: Header=BB4_70 Depth=2
	s_bcnt1_i32_b64 vcc_lo, s[52:53]
	v_mov_b32_e32 v54, vcc_lo
	ds_add_u64 v0, v[54:55]
	s_trap 2
.LBB4_98:                               ;   in Loop: Header=BB4_70 Depth=2
	s_or_b64 exec, exec, s[50:51]
	s_trap 2
	ds_read_b64 v[0:1], v0
	v_accvgpr_read_b32 v4, a30
	v_add_co_u32_e32 v42, vcc, v42, v4
	v_accvgpr_read_b32 v3, a41
	v_addc_co_u32_e32 v43, vcc, v43, v3, vcc
	s_waitcnt lgkmcnt(0)
	v_cmp_lt_u64_e32 vcc, v[0:1], v[42:43]
	s_and_saveexec_b64 s[50:51], vcc
	s_cbranch_execz .LBB4_107
; %bb.99:                               ;   in Loop: Header=BB4_70 Depth=2
	s_mov_b32 s79, 0
	s_mov_b64 s[52:53], 0
                                        ; implicit-def: $sgpr54_sgpr55
                                        ; implicit-def: $sgpr56_sgpr57
	s_branch .LBB4_101
.LBB4_100:                              ;   in Loop: Header=BB4_101 Depth=3
	s_or_b64 exec, exec, s[60:61]
	s_and_b64 vcc, exec, vcc
	s_or_b64 s[52:53], vcc, s[52:53]
	s_andn2_b64 vcc, s[54:55], exec
	s_and_b64 s[54:55], s[56:57], exec
	s_or_b64 s[54:55], vcc, s[54:55]
	s_andn2_b64 exec, exec, s[52:53]
	s_cbranch_execz .LBB4_105
.LBB4_101:                              ;   Parent Loop BB4_21 Depth=1
                                        ;     Parent Loop BB4_70 Depth=2
                                        ; =>    This Inner Loop Header: Depth=3
	s_add_i32 s79, s79, 1
	s_cmpk_lg_i32 s79, 0x2710
	s_cselect_b64 s[58:59], -1, 0
	s_and_b64 vcc, exec, s[58:59]
                                        ; implicit-def: $sgpr60_sgpr61
	s_cbranch_vccnz .LBB4_103
; %bb.102:                              ;   in Loop: Header=BB4_101 Depth=3
	s_trap 2
	ds_read_b64 v[0:1], v0
	s_andn2_b64 s[58:59], s[58:59], exec
	s_mov_b32 s79, 0
	s_mov_b64 s[60:61], -1
	s_waitcnt lgkmcnt(0)
	flat_load_dword v0, v[0:1] glc
	s_waitcnt vmcnt(0) lgkmcnt(0)
	buffer_invl2
	buffer_wbinvl1_vol
	v_cmp_eq_u32_e32 vcc, 0, v0
	s_and_b64 vcc, vcc, exec
	s_or_b64 s[58:59], s[58:59], vcc
.LBB4_103:                              ;   in Loop: Header=BB4_101 Depth=3
	s_andn2_b64 s[56:57], s[56:57], exec
	s_and_b64 s[60:61], s[60:61], exec
	s_mov_b64 vcc, -1
	s_or_b64 s[56:57], s[56:57], s[60:61]
	s_and_saveexec_b64 s[60:61], s[58:59]
	s_cbranch_execz .LBB4_100
; %bb.104:                              ;   in Loop: Header=BB4_101 Depth=3
	s_sleep 1
	s_trap 2
	ds_read_b64 v[0:1], v0
	s_andn2_b64 s[56:57], s[56:57], exec
	s_waitcnt lgkmcnt(0)
	v_cmp_ge_u64_e32 vcc, v[0:1], v[42:43]
	s_orn2_b64 vcc, vcc, exec
	s_branch .LBB4_100
.LBB4_105:                              ;   in Loop: Header=BB4_70 Depth=2
	s_or_b64 exec, exec, s[52:53]
	s_and_saveexec_b64 vcc, s[54:55]
	s_xor_b64 vcc, exec, vcc
	s_cbranch_execz .LBB4_107
; %bb.106:                              ;   in Loop: Header=BB4_70 Depth=2
	v_mov_b32_e32 v0, 1
	ds_write_b32 v0, v0
	s_trap 2
.LBB4_107:                              ;   in Loop: Header=BB4_70 Depth=2
	s_or_b64 exec, exec, s[50:51]
	;;#ASMSTART
	s_wakeup
	;;#ASMEND
.LBB4_108:                              ;   in Loop: Header=BB4_70 Depth=2
	s_or_b64 exec, exec, s[48:49]
.LBB4_109:                              ;   in Loop: Header=BB4_70 Depth=2
	s_andn2_saveexec_b64 vcc, s[46:47]
	s_cbranch_execz .LBB4_111
; %bb.110:                              ;   in Loop: Header=BB4_70 Depth=2
	s_waitcnt vmcnt(0) lgkmcnt(0)
	buffer_wbinvl1_vol
	s_barrier
.LBB4_111:                              ;   in Loop: Header=BB4_70 Depth=2
	s_or_b64 exec, exec, vcc
	s_or_b64 exec, exec, s[20:21]
	v_accvgpr_read_b32 v0, a2
	s_and_saveexec_b64 s[46:47], s[18:19]
	s_cbranch_execz .LBB4_73
.LBB4_112:                              ;   in Loop: Header=BB4_70 Depth=2
	v_accvgpr_read_b32 v4, a48
	s_waitcnt vmcnt(0) lgkmcnt(0)
	v_ashrrev_i32_e32 v0, 31, v2
	v_accvgpr_read_b32 v3, a3
	v_accvgpr_read_b32 v5, a49
	;; [unrolled: 1-line block ×3, first 2 shown]
	v_mad_u64_u32 v[44:45], s[20:21], v3, v2, v[4:5]
	v_mul_lo_u32 v1, v1, v2
	v_mul_lo_u32 v0, v3, v0
	v_add3_u32 v45, v1, v45, v0
	v_and_b32_e32 v0, 7, v34
	v_mul_lo_u32 v0, v0, s62
	v_ashrrev_i32_e32 v1, 31, v0
	v_lshlrev_b64 v[0:1], 4, v[0:1]
	v_accvgpr_read_b32 v2, a18
	v_add_co_u32_e32 v8, vcc, v2, v0
	v_and_b32_e32 v0, 7, v28
	v_accvgpr_read_b32 v3, a19
	v_mul_lo_u32 v0, v0, s62
	v_addc_co_u32_e32 v9, vcc, v3, v1, vcc
	v_ashrrev_i32_e32 v1, 31, v0
	v_lshlrev_b64 v[0:1], 4, v[0:1]
	v_accvgpr_read_b32 v2, a20
	v_accvgpr_write_b32 a6, v60
	v_accvgpr_read_b32 v3, a21
	v_add_co_u32_e32 v33, vcc, v2, v0
	v_accvgpr_write_b32 a7, v61
	v_addc_co_u32_e32 v60, vcc, v3, v1, vcc
	v_mov_b32_e32 v1, v28
	v_add_co_u32_e64 v61, vcc, 0, 0
	v_add_u32_e32 v32, 1, v34
	v_addc_co_u32_e32 v3, vcc, 1, v1, vcc
	s_mov_b64 s[48:49], 0
	v_mov_b32_e32 v21, v62
	v_accvgpr_read_b32 v0, a2
	s_branch .LBB4_114
.LBB4_113:                              ;   in Loop: Header=BB4_114 Depth=3
	s_or_b64 exec, exec, s[20:21]
	v_lshlrev_b32_e32 v17, 8, v26
	v_add_co_u32_e32 v44, vcc, v44, v56
	v_perm_b32 v1, v17, v1, s73
	v_lshlrev_b32_e32 v17, 8, v25
	v_addc_co_u32_e32 v45, vcc, v45, v57, vcc
	v_perm_b32 v18, v17, v22, s73
	v_lshlrev_b32_e32 v17, 16, v36
	v_and_b32_e32 v2, 0xff, v27
	v_perm_b32 v19, v16, v17, s74
	v_add_co_u32_e32 v16, vcc, v33, v4
	v_lshlrev_b32_e32 v2, 16, v2
	v_addc_co_u32_e32 v17, vcc, v60, v5, vcc
	v_sub_u32_e32 v21, v21, v56
	v_lshl_or_b32 v2, v23, 24, v2
	v_cmp_gt_i32_e32 vcc, 1, v21
	v_or3_b32 v2, v2, v1, v61
	v_or3_b32 v4, v19, v18, v61
	v_mov_b32_e32 v5, v3
	s_or_b64 s[48:49], vcc, s[48:49]
	v_add_u32_e32 v0, v0, v20
	global_store_dwordx4 v[16:17], v[2:5], off
	s_andn2_b64 exec, exec, s[48:49]
	s_cbranch_execz .LBB4_514
.LBB4_114:                              ;   Parent Loop BB4_21 Depth=1
                                        ;     Parent Loop BB4_70 Depth=2
                                        ; =>    This Loop Header: Depth=3
                                        ;         Child Loop BB4_122 Depth 4
	v_and_b32_e32 v4, -4, v44
	v_mov_b32_e32 v5, v45
	global_load_dword v2, v[4:5], off glc slc
	v_min_u32_e32 v1, 8, v21
	v_and_b32_e32 v16, 3, v44
	v_add_co_u32_e32 v16, vcc, v16, v1
	v_addc_co_u32_e64 v17, s[20:21], 0, 0, vcc
	v_mov_b32_e32 v46, 0
	v_cmp_lt_u64_e32 vcc, 4, v[16:17]
	v_mov_b32_e32 v22, 0
	s_and_saveexec_b64 s[20:21], vcc
	s_cbranch_execz .LBB4_116
; %bb.115:                              ;   in Loop: Header=BB4_114 Depth=3
	global_load_dword v22, v[4:5], off offset:4 glc slc
.LBB4_116:                              ;   in Loop: Header=BB4_114 Depth=3
	s_or_b64 exec, exec, s[20:21]
	v_cmp_lt_u64_e32 vcc, 8, v[16:17]
	s_and_saveexec_b64 s[20:21], vcc
	s_cbranch_execz .LBB4_118
; %bb.117:                              ;   in Loop: Header=BB4_114 Depth=3
	global_load_dword v46, v[4:5], off offset:8 glc slc
.LBB4_118:                              ;   in Loop: Header=BB4_114 Depth=3
	s_or_b64 exec, exec, s[20:21]
	v_ashrrev_i32_e32 v1, 31, v0
	v_lshlrev_b64 v[4:5], 4, v[0:1]
	v_add_co_u32_e32 v40, vcc, v8, v4
	v_addc_co_u32_e32 v41, vcc, v9, v5, vcc
	global_load_dwordx4 v[16:19], v[40:41], off glc slc
	v_cmp_eq_u32_e32 vcc, 0, v49
	s_and_saveexec_b64 s[50:51], vcc
	s_cbranch_execz .LBB4_130
; %bb.119:                              ;   in Loop: Header=BB4_114 Depth=3
	s_waitcnt vmcnt(0)
	v_cmp_ne_u32_e32 vcc, v32, v17
	v_cmp_ne_u32_e64 s[20:21], v32, v19
	s_or_b64 s[20:21], vcc, s[20:21]
	v_mov_b32_e32 v49, 0
	s_and_saveexec_b64 s[52:53], s[20:21]
	s_cbranch_execz .LBB4_129
; %bb.120:                              ;   in Loop: Header=BB4_114 Depth=3
	s_mov_b32 s58, 1
	s_mov_b64 s[54:55], 0
	v_mov_b32_e32 v49, 0
	s_branch .LBB4_122
.LBB4_121:                              ;   in Loop: Header=BB4_122 Depth=4
	s_or_b64 exec, exec, s[56:57]
	s_and_b64 s[20:21], exec, s[20:21]
	s_or_b64 s[54:55], s[20:21], s[54:55]
	s_andn2_b64 exec, exec, s[54:55]
	s_cbranch_execz .LBB4_128
.LBB4_122:                              ;   Parent Loop BB4_21 Depth=1
                                        ;     Parent Loop BB4_70 Depth=2
                                        ;       Parent Loop BB4_114 Depth=3
                                        ; =>      This Inner Loop Header: Depth=4
	global_load_dwordx4 v[16:19], v[40:41], off glc slc
	s_add_i32 s58, s58, 1
	s_cmpk_lg_i32 s58, 0x2710
	s_cbranch_scc1 .LBB4_126
; %bb.123:                              ;   in Loop: Header=BB4_122 Depth=4
	s_trap 2
	ds_read_b64 v[24:25], v0
	s_waitcnt vmcnt(0) lgkmcnt(0)
	flat_load_dword v1, v[24:25] glc
	s_waitcnt vmcnt(0) lgkmcnt(0)
	buffer_invl2
	buffer_wbinvl1_vol
	v_cmp_ne_u32_e32 vcc, 0, v1
	s_and_saveexec_b64 s[20:21], vcc
	s_cbranch_execz .LBB4_125
; %bb.124:                              ;   in Loop: Header=BB4_122 Depth=4
	v_mov_b32_e32 v49, 1
	ds_write_b32 v0, v1
	s_trap 2
.LBB4_125:                              ;   in Loop: Header=BB4_122 Depth=4
	s_or_b64 exec, exec, s[20:21]
	s_mov_b32 s58, 0
	v_mov_b32_e32 v1, v49
	v_cmp_eq_u32_e32 vcc, 0, v1
	s_mov_b64 s[20:21], -1
	s_and_saveexec_b64 s[56:57], vcc
	s_cbranch_execz .LBB4_121
	s_branch .LBB4_127
.LBB4_126:                              ;   in Loop: Header=BB4_122 Depth=4
	v_mov_b32_e32 v1, 0
	v_cmp_eq_u32_e32 vcc, 0, v1
	s_mov_b64 s[20:21], -1
	s_and_saveexec_b64 s[56:57], vcc
	s_cbranch_execz .LBB4_121
.LBB4_127:                              ;   in Loop: Header=BB4_122 Depth=4
	s_waitcnt vmcnt(0)
	v_cmp_eq_u32_e32 vcc, v32, v17
	v_cmp_eq_u32_e64 s[20:21], v32, v19
	s_and_b64 s[20:21], vcc, s[20:21]
	s_orn2_b64 s[20:21], s[20:21], exec
	s_branch .LBB4_121
.LBB4_128:                              ;   in Loop: Header=BB4_114 Depth=3
	s_or_b64 exec, exec, s[54:55]
.LBB4_129:                              ;   in Loop: Header=BB4_114 Depth=3
	s_or_b64 exec, exec, s[52:53]
.LBB4_130:                              ;   in Loop: Header=BB4_114 Depth=3
	s_or_b64 exec, exec, s[50:51]
	v_lshlrev_b32_e32 v36, 3, v44
	s_waitcnt vmcnt(1)
	v_alignbit_b32 v54, v22, v2, v36
	s_waitcnt vmcnt(0)
	v_cmp_ne_u16_sdwa s[20:21], v16, v55 src0_sel:BYTE_0 src1_sel:DWORD
                                        ; implicit-def: $vgpr23
	s_and_saveexec_b64 vcc, s[14:15]
	s_xor_b64 s[50:51], exec, vcc
	s_cbranch_execz .LBB4_148
; %bb.131:                              ;   in Loop: Header=BB4_114 Depth=3
	v_mov_b32_e32 v2, 0
	v_mov_b32_e32 v1, 0
	s_and_saveexec_b64 s[52:53], s[20:21]
	s_cbranch_execz .LBB4_139
; %bb.132:                              ;   in Loop: Header=BB4_114 Depth=3
	v_cmp_ne_u16_sdwa vcc, sext(v16), s65 src0_sel:BYTE_0 src1_sel:DWORD
	v_bfrev_b32_e32 v1, 1
	s_and_saveexec_b64 s[54:55], vcc
	s_cbranch_execz .LBB4_138
; %bb.133:                              ;   in Loop: Header=BB4_114 Depth=3
	v_and_b32_e32 v1, 0x7c, v16
	v_and_b32_e32 v23, 3, v16
	v_cmp_ne_u32_e32 vcc, s66, v1
                                        ; implicit-def: $vgpr1
	s_and_saveexec_b64 s[56:57], vcc
	s_xor_b64 s[56:57], exec, s[56:57]
	s_cbranch_execz .LBB4_135
; %bb.134:                              ;   in Loop: Header=BB4_114 Depth=3
	v_ffbh_u32_e32 v24, v23
	v_min_u32_e32 v26, 32, v24
	v_subrev_u32_e32 v24, 29, v26
	v_bfe_u32 v1, v16, 2, 5
	v_lshlrev_b64 v[24:25], v24, v[16:17]
	v_sub_u32_e32 v25, 30, v26
	v_cmp_eq_u32_e32 vcc, 0, v1
	v_and_b32_e32 v24, 3, v24
	v_cndmask_b32_e32 v1, v1, v25, vcc
	v_cndmask_b32_e32 v23, v23, v24, vcc
	v_lshlrev_b32_e32 v24, 24, v16
	v_lshl_add_u32 v1, v1, 23, v47
	v_and_or_b32 v1, v24, s67, v1
	v_lshl_or_b32 v1, v23, 21, v1
                                        ; implicit-def: $vgpr23
.LBB4_135:                              ;   in Loop: Header=BB4_114 Depth=3
	s_andn2_saveexec_b64 s[56:57], s[56:57]
; %bb.136:                              ;   in Loop: Header=BB4_114 Depth=3
	v_cmp_gt_i16_sdwa vcc, sext(v16), v6 src0_sel:BYTE_0 src1_sel:DWORD
	v_cndmask_b32_e32 v1, v7, v10, vcc
	v_cmp_eq_u32_e32 vcc, 0, v23
	v_cndmask_b32_e32 v1, v11, v1, vcc
; %bb.137:                              ;   in Loop: Header=BB4_114 Depth=3
	s_or_b64 exec, exec, s[56:57]
.LBB4_138:                              ;   in Loop: Header=BB4_114 Depth=3
	s_or_b64 exec, exec, s[54:55]
.LBB4_139:                              ;   in Loop: Header=BB4_114 Depth=3
	s_or_b64 exec, exec, s[52:53]
	v_cmp_ne_u16_sdwa vcc, sext(v54), v55 src0_sel:BYTE_0 src1_sel:DWORD
	s_and_saveexec_b64 s[52:53], vcc
	s_cbranch_execz .LBB4_147
; %bb.140:                              ;   in Loop: Header=BB4_114 Depth=3
	v_cmp_ne_u16_sdwa vcc, sext(v54), s65 src0_sel:BYTE_0 src1_sel:DWORD
	v_bfrev_b32_e32 v2, 1
	s_and_saveexec_b64 s[54:55], vcc
	s_cbranch_execz .LBB4_146
; %bb.141:                              ;   in Loop: Header=BB4_114 Depth=3
	v_and_b32_e32 v2, 0x7c, v54
	v_and_b32_e32 v23, 3, v54
	v_cmp_ne_u32_e32 vcc, s66, v2
                                        ; implicit-def: $vgpr2
	s_and_saveexec_b64 s[56:57], vcc
	s_xor_b64 s[56:57], exec, s[56:57]
	s_cbranch_execz .LBB4_143
; %bb.142:                              ;   in Loop: Header=BB4_114 Depth=3
	v_ffbh_u32_e32 v24, v23
	v_min_u32_e32 v26, 32, v24
	v_subrev_u32_e32 v24, 29, v26
	v_bfe_u32 v2, v54, 2, 5
	v_lshlrev_b64 v[24:25], v24, v[54:55]
	v_sub_u32_e32 v25, 30, v26
	v_cmp_eq_u32_e32 vcc, 0, v2
	v_and_b32_e32 v24, 3, v24
	v_cndmask_b32_e32 v2, v2, v25, vcc
	v_cndmask_b32_e32 v23, v23, v24, vcc
	v_lshlrev_b32_e32 v24, 24, v54
	v_lshl_add_u32 v2, v2, 23, v47
	v_and_or_b32 v2, v24, s67, v2
	v_lshl_or_b32 v2, v23, 21, v2
                                        ; implicit-def: $vgpr23
.LBB4_143:                              ;   in Loop: Header=BB4_114 Depth=3
	s_andn2_saveexec_b64 s[56:57], s[56:57]
; %bb.144:                              ;   in Loop: Header=BB4_114 Depth=3
	v_cmp_gt_i16_sdwa vcc, sext(v54), v6 src0_sel:BYTE_0 src1_sel:DWORD
	v_cndmask_b32_e32 v2, v7, v10, vcc
	v_cmp_eq_u32_e32 vcc, 0, v23
	v_cndmask_b32_e32 v2, v11, v2, vcc
; %bb.145:                              ;   in Loop: Header=BB4_114 Depth=3
	s_or_b64 exec, exec, s[56:57]
.LBB4_146:                              ;   in Loop: Header=BB4_114 Depth=3
	s_or_b64 exec, exec, s[54:55]
.LBB4_147:                              ;   in Loop: Header=BB4_114 Depth=3
	s_or_b64 exec, exec, s[52:53]
	v_max_f32_e32 v2, v2, v2
	v_max_f32_e32 v1, v1, v1
	;; [unrolled: 1-line block ×3, first 2 shown]
.LBB4_148:                              ;   in Loop: Header=BB4_114 Depth=3
	s_andn2_saveexec_b64 s[50:51], s[50:51]
	s_cbranch_execz .LBB4_166
; %bb.149:                              ;   in Loop: Header=BB4_114 Depth=3
	v_mov_b32_e32 v2, 0
	v_mov_b32_e32 v1, 0
	s_and_saveexec_b64 s[52:53], s[20:21]
	s_cbranch_execz .LBB4_157
; %bb.150:                              ;   in Loop: Header=BB4_114 Depth=3
	v_cmp_ne_u16_sdwa vcc, sext(v16), s65 src0_sel:BYTE_0 src1_sel:DWORD
	v_bfrev_b32_e32 v1, 1
	s_and_saveexec_b64 s[20:21], vcc
	s_cbranch_execz .LBB4_156
; %bb.151:                              ;   in Loop: Header=BB4_114 Depth=3
	v_and_b32_e32 v1, 0x7c, v16
	v_and_b32_e32 v23, 3, v16
	v_cmp_ne_u32_e32 vcc, s66, v1
                                        ; implicit-def: $vgpr1
	s_and_saveexec_b64 s[54:55], vcc
	s_xor_b64 s[54:55], exec, s[54:55]
	s_cbranch_execz .LBB4_153
; %bb.152:                              ;   in Loop: Header=BB4_114 Depth=3
	v_ffbh_u32_e32 v24, v23
	v_min_u32_e32 v26, 32, v24
	v_bfe_u32 v1, v16, 2, 5
	v_subrev_u32_e32 v24, 29, v26
	v_lshlrev_b64 v[24:25], v24, v[16:17]
	v_sub_u32_e32 v17, 30, v26
	v_cmp_eq_u32_e32 vcc, 0, v1
	v_and_b32_e32 v24, 3, v24
	v_cndmask_b32_e32 v1, v1, v17, vcc
	v_cndmask_b32_e32 v17, v23, v24, vcc
	v_lshlrev_b32_e32 v23, 24, v16
	v_lshl_add_u32 v1, v1, 23, v47
	v_and_or_b32 v1, v23, s67, v1
	v_lshl_or_b32 v1, v17, 21, v1
                                        ; implicit-def: $vgpr23
.LBB4_153:                              ;   in Loop: Header=BB4_114 Depth=3
	s_andn2_saveexec_b64 s[54:55], s[54:55]
; %bb.154:                              ;   in Loop: Header=BB4_114 Depth=3
	v_cmp_gt_i16_sdwa vcc, sext(v16), v6 src0_sel:BYTE_0 src1_sel:DWORD
	v_cndmask_b32_e32 v1, v7, v10, vcc
	v_cmp_eq_u32_e32 vcc, 0, v23
	v_cndmask_b32_e32 v1, v11, v1, vcc
; %bb.155:                              ;   in Loop: Header=BB4_114 Depth=3
	s_or_b64 exec, exec, s[54:55]
.LBB4_156:                              ;   in Loop: Header=BB4_114 Depth=3
	s_or_b64 exec, exec, s[20:21]
.LBB4_157:                              ;   in Loop: Header=BB4_114 Depth=3
	s_or_b64 exec, exec, s[52:53]
	v_cmp_ne_u16_sdwa vcc, sext(v54), v55 src0_sel:BYTE_0 src1_sel:DWORD
	s_and_saveexec_b64 s[20:21], vcc
	s_cbranch_execz .LBB4_165
; %bb.158:                              ;   in Loop: Header=BB4_114 Depth=3
	v_cmp_ne_u16_sdwa vcc, sext(v54), s65 src0_sel:BYTE_0 src1_sel:DWORD
	v_bfrev_b32_e32 v2, 1
	s_and_saveexec_b64 s[52:53], vcc
	s_cbranch_execz .LBB4_164
; %bb.159:                              ;   in Loop: Header=BB4_114 Depth=3
	v_and_b32_e32 v2, 0x7c, v54
	v_and_b32_e32 v17, 3, v54
	v_cmp_ne_u32_e32 vcc, s66, v2
                                        ; implicit-def: $vgpr2
	s_and_saveexec_b64 s[54:55], vcc
	s_xor_b64 s[54:55], exec, s[54:55]
	s_cbranch_execz .LBB4_161
; %bb.160:                              ;   in Loop: Header=BB4_114 Depth=3
	v_ffbh_u32_e32 v23, v17
	v_bfe_u32 v2, v54, 2, 5
	v_min_u32_e32 v23, 32, v23
	v_subrev_u32_e32 v24, 29, v23
	v_sub_u32_e32 v23, 30, v23
	v_cmp_eq_u32_e32 vcc, 0, v2
	v_lshlrev_b64 v[24:25], v24, v[54:55]
	v_cndmask_b32_e32 v2, v2, v23, vcc
	v_and_b32_e32 v24, 3, v24
	v_lshlrev_b32_e32 v23, 24, v54
	v_lshl_add_u32 v2, v2, 23, v47
	v_cndmask_b32_e32 v17, v17, v24, vcc
	v_and_or_b32 v2, v23, s67, v2
	v_lshl_or_b32 v2, v17, 21, v2
                                        ; implicit-def: $vgpr17
.LBB4_161:                              ;   in Loop: Header=BB4_114 Depth=3
	s_andn2_saveexec_b64 s[54:55], s[54:55]
; %bb.162:                              ;   in Loop: Header=BB4_114 Depth=3
	v_cmp_gt_i16_sdwa vcc, sext(v54), v6 src0_sel:BYTE_0 src1_sel:DWORD
	v_cndmask_b32_e32 v2, v7, v10, vcc
	v_cmp_eq_u32_e32 vcc, 0, v17
	v_cndmask_b32_e32 v2, v11, v2, vcc
; %bb.163:                              ;   in Loop: Header=BB4_114 Depth=3
	s_or_b64 exec, exec, s[54:55]
.LBB4_164:                              ;   in Loop: Header=BB4_114 Depth=3
	s_or_b64 exec, exec, s[52:53]
.LBB4_165:                              ;   in Loop: Header=BB4_114 Depth=3
	s_or_b64 exec, exec, s[20:21]
	v_max_f32_e32 v2, v2, v2
	v_max_f32_e32 v1, v1, v1
	v_min_f32_e32 v23, v1, v2
.LBB4_166:                              ;   in Loop: Header=BB4_114 Depth=3
	s_or_b64 exec, exec, s[50:51]
	v_and_b32_sdwa v2, v23, s68 dst_sel:DWORD dst_unused:UNUSED_PAD src0_sel:BYTE_3 src1_sel:DWORD
	v_and_b32_e32 v26, 0x7f800000, v23
	v_mov_b32_e32 v27, v55
	v_and_b32_e32 v24, 0x7fffff, v23
	v_mov_b32_e32 v25, v55
	v_or_b32_e32 v1, 0x7b, v2
	v_cmp_ne_u64_e32 vcc, s[40:41], v[26:27]
	s_and_saveexec_b64 s[20:21], vcc
	s_xor_b64 s[50:51], exec, s[20:21]
	s_cbranch_execz .LBB4_176
; %bb.167:                              ;   in Loop: Header=BB4_114 Depth=3
	v_and_b32_e32 v26, 0x7fffffff, v23
	v_mov_b32_e32 v27, v55
	v_cmp_gt_u64_e32 vcc, s[42:43], v[26:27]
	s_and_saveexec_b64 s[52:53], vcc
	s_cbranch_execz .LBB4_175
; %bb.168:                              ;   in Loop: Header=BB4_114 Depth=3
	v_cmp_ne_u32_e32 vcc, 0, v23
	v_mov_b32_e32 v1, 0
	s_and_saveexec_b64 s[54:55], vcc
	s_cbranch_execz .LBB4_174
; %bb.169:                              ;   in Loop: Header=BB4_114 Depth=3
	v_bfe_u32 v1, v23, 23, 8
	v_sub_u32_e32 v23, 0x71, v1
	v_cmp_gt_u32_e32 vcc, s69, v1
	v_add_u32_e32 v17, 0xffffff81, v1
	v_cndmask_b32_e32 v23, 0, v23, vcc
	v_cmp_eq_u32_e32 vcc, 0, v1
	v_cndmask_b32_e32 v1, v17, v30, vcc
	v_cndmask_b32_e32 v17, v23, v48, vcc
	v_or_b32_e32 v26, 0x800000, v24
	v_add_u32_e32 v23, 21, v17
	v_cndmask_b32_e32 v24, v26, v24, vcc
	v_lshlrev_b64 v[26:27], v23, -1
	v_not_b32_e32 v23, v27
	v_not_b32_e32 v26, v26
	v_and_b32_e32 v27, 0, v23
	v_and_b32_e32 v26, v24, v26
	v_add_u32_e32 v23, 20, v17
	v_lshrrev_b64 v[24:25], v17, v[24:25]
	v_lshlrev_b64 v[40:41], v23, 1
	v_lshrrev_b32_e32 v23, 23, v24
	v_add3_u32 v23, v17, v1, v23
	v_bfe_u32 v1, v24, 21, 1
	v_add_u32_e32 v1, -1, v1
	v_cmp_eq_u64_e32 vcc, v[26:27], v[40:41]
	v_cndmask_b32_e32 v1, 0, v1, vcc
	v_add_u32_e32 v1, v1, v24
	v_and_b32_e32 v1, 0x1fffff, v1
	v_add_co_u32_e32 v24, vcc, v1, v24
	v_add_u32_e32 v17, 14, v23
	v_addc_co_u32_e32 v25, vcc, 0, v25, vcc
	v_cmp_ne_u32_e32 vcc, 0, v17
                                        ; implicit-def: $vgpr1
	s_and_saveexec_b64 s[20:21], vcc
	s_xor_b64 s[20:21], exec, s[20:21]
; %bb.170:                              ;   in Loop: Header=BB4_114 Depth=3
	v_add_u32_e32 v1, 15, v23
	v_cmp_lt_u64_e32 vcc, s[44:45], v[24:25]
	v_cndmask_b32_e32 v1, v17, v1, vcc
	v_cndmask_b32_e64 v17, 0, 1, vcc
	v_lshrrev_b64 v[24:25], v17, v[24:25]
; %bb.171:                              ;   in Loop: Header=BB4_114 Depth=3
	s_andn2_saveexec_b64 s[20:21], s[20:21]
; %bb.172:                              ;   in Loop: Header=BB4_114 Depth=3
	v_bfe_u32 v1, v24, 23, 1
; %bb.173:                              ;   in Loop: Header=BB4_114 Depth=3
	s_or_b64 exec, exec, s[20:21]
	v_lshrrev_b64 v[24:25], 21, v[24:25]
	v_cmp_gt_i32_e32 vcc, 32, v1
	v_cndmask_b32_e32 v25, 0, v25, vcc
	v_cndmask_b32_e32 v24, 3, v24, vcc
	v_cmp_eq_u32_e32 vcc, 0, v1
	v_min_i32_e32 v1, 31, v1
	v_cmp_eq_u64_e64 s[20:21], 0, v[24:25]
	v_lshlrev_b32_e32 v1, 2, v1
	v_and_or_b32 v1, v24, 3, v1
	s_and_b64 s[20:21], vcc, s[20:21]
	v_cndmask_b32_e64 v1, v1, 0, s[20:21]
	v_or_b32_e32 v1, v1, v2
.LBB4_174:                              ;   in Loop: Header=BB4_114 Depth=3
	s_or_b64 exec, exec, s[54:55]
.LBB4_175:                              ;   in Loop: Header=BB4_114 Depth=3
	s_or_b64 exec, exec, s[52:53]
                                        ; implicit-def: $vgpr23
                                        ; implicit-def: $vgpr24_vgpr25
.LBB4_176:                              ;   in Loop: Header=BB4_114 Depth=3
	s_andn2_saveexec_b64 s[20:21], s[50:51]
; %bb.177:                              ;   in Loop: Header=BB4_114 Depth=3
	v_or_b32_sdwa v2, v23, s70 dst_sel:DWORD dst_unused:UNUSED_PAD src0_sel:BYTE_3 src1_sel:DWORD
	v_cmp_eq_u64_e32 vcc, 0, v[24:25]
	v_cndmask_b32_e32 v1, v2, v1, vcc
; %bb.178:                              ;   in Loop: Header=BB4_114 Depth=3
	s_or_b64 exec, exec, s[20:21]
	v_lshrrev_b16_e32 v24, 8, v16
	v_lshrrev_b16_e32 v40, 8, v54
	v_cmp_ne_u16_e32 vcc, 0, v24
                                        ; implicit-def: $vgpr17
	s_and_saveexec_b64 s[20:21], s[14:15]
	s_xor_b64 s[50:51], exec, s[20:21]
	s_cbranch_execz .LBB4_196
; %bb.179:                              ;   in Loop: Header=BB4_114 Depth=3
	v_mov_b32_e32 v17, 0
	v_mov_b32_e32 v2, 0
	s_and_saveexec_b64 s[52:53], vcc
	s_cbranch_execz .LBB4_187
; %bb.180:                              ;   in Loop: Header=BB4_114 Depth=3
	v_cmp_ne_u16_e64 s[20:21], s68, v24
	v_bfrev_b32_e32 v2, 1
	s_and_saveexec_b64 s[54:55], s[20:21]
	s_cbranch_execz .LBB4_186
; %bb.181:                              ;   in Loop: Header=BB4_114 Depth=3
	v_and_b32_e32 v2, 0x7c, v24
	v_and_b32_e32 v23, 3, v24
	v_cmp_ne_u32_e64 s[20:21], s66, v2
                                        ; implicit-def: $vgpr2
	s_and_saveexec_b64 s[56:57], s[20:21]
	s_xor_b64 s[56:57], exec, s[56:57]
	s_cbranch_execz .LBB4_183
; %bb.182:                              ;   in Loop: Header=BB4_114 Depth=3
	v_ffbh_u32_e32 v26, v23
	v_min_u32_e32 v26, 32, v26
	v_mov_b32_e32 v25, v55
	v_subrev_u32_e32 v27, 29, v26
	v_bfe_u32 v2, v24, 2, 5
	v_lshlrev_b64 v[24:25], v27, v[24:25]
	v_sub_u32_e32 v25, 30, v26
	v_cmp_eq_u32_e64 s[20:21], 0, v2
	v_and_b32_e32 v24, 3, v24
	v_cndmask_b32_e64 v2, v2, v25, s[20:21]
	v_cndmask_b32_e64 v23, v23, v24, s[20:21]
	v_lshlrev_b32_e32 v24, 16, v16
	v_lshl_add_u32 v2, v2, 23, v47
	v_and_or_b32 v2, v24, s67, v2
	v_lshl_or_b32 v2, v23, 21, v2
                                        ; implicit-def: $vgpr23
.LBB4_183:                              ;   in Loop: Header=BB4_114 Depth=3
	s_andn2_saveexec_b64 s[56:57], s[56:57]
; %bb.184:                              ;   in Loop: Header=BB4_114 Depth=3
	v_cmp_lt_i16_e64 s[20:21], -1, v16
	v_cndmask_b32_e64 v2, v7, v10, s[20:21]
	v_cmp_eq_u32_e64 s[20:21], 0, v23
	v_cndmask_b32_e64 v2, v11, v2, s[20:21]
; %bb.185:                              ;   in Loop: Header=BB4_114 Depth=3
	s_or_b64 exec, exec, s[56:57]
.LBB4_186:                              ;   in Loop: Header=BB4_114 Depth=3
	s_or_b64 exec, exec, s[54:55]
.LBB4_187:                              ;   in Loop: Header=BB4_114 Depth=3
	s_or_b64 exec, exec, s[52:53]
	v_cmp_ne_u16_e64 s[20:21], 0, v40
	s_and_saveexec_b64 s[52:53], s[20:21]
	s_cbranch_execz .LBB4_195
; %bb.188:                              ;   in Loop: Header=BB4_114 Depth=3
	v_cmp_ne_u16_e64 s[20:21], s68, v40
	v_bfrev_b32_e32 v17, 1
	s_and_saveexec_b64 s[54:55], s[20:21]
	s_cbranch_execz .LBB4_194
; %bb.189:                              ;   in Loop: Header=BB4_114 Depth=3
	v_and_b32_e32 v17, 0x7c, v40
	v_and_b32_e32 v23, 3, v40
	v_cmp_ne_u32_e64 s[20:21], s66, v17
                                        ; implicit-def: $vgpr17
	s_and_saveexec_b64 s[56:57], s[20:21]
	s_xor_b64 s[56:57], exec, s[56:57]
	s_cbranch_execz .LBB4_191
; %bb.190:                              ;   in Loop: Header=BB4_114 Depth=3
	v_ffbh_u32_e32 v24, v23
	v_min_u32_e32 v26, 32, v24
	v_mov_b32_e32 v41, v55
	v_subrev_u32_e32 v24, 29, v26
	v_bfe_u32 v17, v40, 2, 5
	v_lshlrev_b64 v[24:25], v24, v[40:41]
	v_sub_u32_e32 v25, 30, v26
	v_cmp_eq_u32_e64 s[20:21], 0, v17
	v_and_b32_e32 v24, 3, v24
	v_cndmask_b32_e64 v17, v17, v25, s[20:21]
	v_cndmask_b32_e64 v23, v23, v24, s[20:21]
	v_lshlrev_b32_e32 v24, 16, v54
	v_lshl_add_u32 v17, v17, 23, v47
	v_and_or_b32 v17, v24, s67, v17
	v_lshl_or_b32 v17, v23, 21, v17
                                        ; implicit-def: $vgpr23
.LBB4_191:                              ;   in Loop: Header=BB4_114 Depth=3
	s_andn2_saveexec_b64 s[56:57], s[56:57]
; %bb.192:                              ;   in Loop: Header=BB4_114 Depth=3
	v_cmp_lt_i16_e64 s[20:21], -1, v54
	v_cndmask_b32_e64 v17, v7, v10, s[20:21]
	v_cmp_eq_u32_e64 s[20:21], 0, v23
	v_cndmask_b32_e64 v17, v11, v17, s[20:21]
; %bb.193:                              ;   in Loop: Header=BB4_114 Depth=3
	s_or_b64 exec, exec, s[56:57]
.LBB4_194:                              ;   in Loop: Header=BB4_114 Depth=3
	s_or_b64 exec, exec, s[54:55]
.LBB4_195:                              ;   in Loop: Header=BB4_114 Depth=3
	s_or_b64 exec, exec, s[52:53]
	v_max_f32_e32 v17, v17, v17
	v_max_f32_e32 v2, v2, v2
	;; [unrolled: 1-line block ×3, first 2 shown]
                                        ; implicit-def: $vgpr40
                                        ; implicit-def: $vgpr24
.LBB4_196:                              ;   in Loop: Header=BB4_114 Depth=3
	s_andn2_saveexec_b64 s[20:21], s[50:51]
	s_cbranch_execz .LBB4_214
; %bb.197:                              ;   in Loop: Header=BB4_114 Depth=3
	v_mov_b32_e32 v17, 0
	v_mov_b32_e32 v2, 0
	s_and_saveexec_b64 s[50:51], vcc
	s_cbranch_execz .LBB4_205
; %bb.198:                              ;   in Loop: Header=BB4_114 Depth=3
	v_cmp_ne_u16_e32 vcc, s68, v24
	v_bfrev_b32_e32 v2, 1
	s_and_saveexec_b64 s[52:53], vcc
	s_cbranch_execz .LBB4_204
; %bb.199:                              ;   in Loop: Header=BB4_114 Depth=3
	v_and_b32_e32 v2, 0x7c, v24
	v_and_b32_e32 v23, 3, v24
	v_cmp_ne_u32_e32 vcc, s66, v2
                                        ; implicit-def: $vgpr2
	s_and_saveexec_b64 s[54:55], vcc
	s_xor_b64 s[54:55], exec, s[54:55]
	s_cbranch_execz .LBB4_201
; %bb.200:                              ;   in Loop: Header=BB4_114 Depth=3
	v_ffbh_u32_e32 v26, v23
	v_min_u32_e32 v26, 32, v26
	v_mov_b32_e32 v25, v55
	v_subrev_u32_e32 v27, 29, v26
	v_bfe_u32 v2, v24, 2, 5
	v_lshlrev_b64 v[24:25], v27, v[24:25]
	v_sub_u32_e32 v25, 30, v26
	v_cmp_eq_u32_e32 vcc, 0, v2
	v_and_b32_e32 v24, 3, v24
	v_cndmask_b32_e32 v2, v2, v25, vcc
	v_cndmask_b32_e32 v23, v23, v24, vcc
	v_lshlrev_b32_e32 v24, 16, v16
	v_lshl_add_u32 v2, v2, 23, v47
	v_and_or_b32 v2, v24, s67, v2
	v_lshl_or_b32 v2, v23, 21, v2
                                        ; implicit-def: $vgpr23
.LBB4_201:                              ;   in Loop: Header=BB4_114 Depth=3
	s_andn2_saveexec_b64 s[54:55], s[54:55]
; %bb.202:                              ;   in Loop: Header=BB4_114 Depth=3
	v_cmp_lt_i16_e32 vcc, -1, v16
	v_cndmask_b32_e32 v2, v7, v10, vcc
	v_cmp_eq_u32_e32 vcc, 0, v23
	v_cndmask_b32_e32 v2, v11, v2, vcc
; %bb.203:                              ;   in Loop: Header=BB4_114 Depth=3
	s_or_b64 exec, exec, s[54:55]
.LBB4_204:                              ;   in Loop: Header=BB4_114 Depth=3
	s_or_b64 exec, exec, s[52:53]
.LBB4_205:                              ;   in Loop: Header=BB4_114 Depth=3
	s_or_b64 exec, exec, s[50:51]
	v_cmp_ne_u16_e32 vcc, 0, v40
	s_and_saveexec_b64 s[50:51], vcc
	s_cbranch_execz .LBB4_213
; %bb.206:                              ;   in Loop: Header=BB4_114 Depth=3
	v_cmp_ne_u16_e32 vcc, s68, v40
	v_bfrev_b32_e32 v17, 1
	s_and_saveexec_b64 s[52:53], vcc
	s_cbranch_execz .LBB4_212
; %bb.207:                              ;   in Loop: Header=BB4_114 Depth=3
	v_and_b32_e32 v17, 0x7c, v40
	v_and_b32_e32 v23, 3, v40
	v_cmp_ne_u32_e32 vcc, s66, v17
                                        ; implicit-def: $vgpr17
	s_and_saveexec_b64 s[54:55], vcc
	s_xor_b64 s[54:55], exec, s[54:55]
	s_cbranch_execz .LBB4_209
; %bb.208:                              ;   in Loop: Header=BB4_114 Depth=3
	v_ffbh_u32_e32 v24, v23
	v_min_u32_e32 v26, 32, v24
	v_mov_b32_e32 v41, v55
	v_subrev_u32_e32 v24, 29, v26
	v_bfe_u32 v17, v40, 2, 5
	v_lshlrev_b64 v[24:25], v24, v[40:41]
	v_sub_u32_e32 v25, 30, v26
	v_cmp_eq_u32_e32 vcc, 0, v17
	v_and_b32_e32 v24, 3, v24
	v_cndmask_b32_e32 v17, v17, v25, vcc
	v_cndmask_b32_e32 v23, v23, v24, vcc
	v_lshlrev_b32_e32 v24, 16, v54
	v_lshl_add_u32 v17, v17, 23, v47
	v_and_or_b32 v17, v24, s67, v17
	v_lshl_or_b32 v17, v23, 21, v17
                                        ; implicit-def: $vgpr23
.LBB4_209:                              ;   in Loop: Header=BB4_114 Depth=3
	s_andn2_saveexec_b64 s[54:55], s[54:55]
; %bb.210:                              ;   in Loop: Header=BB4_114 Depth=3
	v_cmp_lt_i16_e32 vcc, -1, v54
	v_cndmask_b32_e32 v17, v7, v10, vcc
	v_cmp_eq_u32_e32 vcc, 0, v23
	v_cndmask_b32_e32 v17, v11, v17, vcc
; %bb.211:                              ;   in Loop: Header=BB4_114 Depth=3
	s_or_b64 exec, exec, s[54:55]
.LBB4_212:                              ;   in Loop: Header=BB4_114 Depth=3
	s_or_b64 exec, exec, s[52:53]
.LBB4_213:                              ;   in Loop: Header=BB4_114 Depth=3
	s_or_b64 exec, exec, s[50:51]
	v_max_f32_e32 v17, v17, v17
	v_max_f32_e32 v2, v2, v2
	v_min_f32_e32 v17, v2, v17
.LBB4_214:                              ;   in Loop: Header=BB4_114 Depth=3
	s_or_b64 exec, exec, s[20:21]
	v_and_b32_sdwa v2, v17, s68 dst_sel:DWORD dst_unused:UNUSED_PAD src0_sel:BYTE_3 src1_sel:DWORD
	v_and_b32_e32 v40, 0x7f800000, v17
	v_mov_b32_e32 v41, v55
	v_and_b32_e32 v24, 0x7fffff, v17
	v_mov_b32_e32 v25, v55
	v_or_b32_e32 v26, 0x7b, v2
	v_cmp_ne_u64_e32 vcc, s[40:41], v[40:41]
	s_and_saveexec_b64 s[20:21], vcc
	s_xor_b64 s[50:51], exec, s[20:21]
	s_cbranch_execz .LBB4_224
; %bb.215:                              ;   in Loop: Header=BB4_114 Depth=3
	v_and_b32_e32 v40, 0x7fffffff, v17
	v_mov_b32_e32 v41, v55
	v_cmp_gt_u64_e32 vcc, s[42:43], v[40:41]
	s_and_saveexec_b64 s[52:53], vcc
	s_cbranch_execz .LBB4_223
; %bb.216:                              ;   in Loop: Header=BB4_114 Depth=3
	v_cmp_ne_u32_e32 vcc, 0, v17
	v_mov_b32_e32 v26, 0
	s_and_saveexec_b64 s[54:55], vcc
	s_cbranch_execz .LBB4_222
; %bb.217:                              ;   in Loop: Header=BB4_114 Depth=3
	v_bfe_u32 v17, v17, 23, 8
	v_sub_u32_e32 v26, 0x71, v17
	v_cmp_gt_u32_e32 vcc, s69, v17
	v_add_u32_e32 v23, 0xffffff81, v17
	v_cndmask_b32_e32 v26, 0, v26, vcc
	v_cmp_eq_u32_e32 vcc, 0, v17
	v_cndmask_b32_e32 v17, v23, v30, vcc
	v_cndmask_b32_e32 v23, v26, v48, vcc
	v_or_b32_e32 v27, 0x800000, v24
	v_add_u32_e32 v26, 21, v23
	v_cndmask_b32_e32 v24, v27, v24, vcc
	v_lshlrev_b64 v[26:27], v26, -1
	v_not_b32_e32 v26, v26
	v_and_b32_e32 v40, v24, v26
	v_add_u32_e32 v26, 20, v23
	v_lshrrev_b64 v[24:25], v23, v[24:25]
	v_not_b32_e32 v27, v27
	v_lshlrev_b64 v[50:51], v26, 1
	v_lshrrev_b32_e32 v26, 23, v24
	v_and_b32_e32 v41, 0, v27
	v_add3_u32 v26, v23, v17, v26
	v_bfe_u32 v17, v24, 21, 1
	v_add_u32_e32 v17, -1, v17
	v_cmp_eq_u64_e32 vcc, v[40:41], v[50:51]
	v_cndmask_b32_e32 v17, 0, v17, vcc
	v_add_u32_e32 v17, v17, v24
	v_and_b32_e32 v17, 0x1fffff, v17
	v_add_co_u32_e32 v24, vcc, v17, v24
	v_add_u32_e32 v23, 14, v26
	v_addc_co_u32_e32 v25, vcc, 0, v25, vcc
	v_cmp_ne_u32_e32 vcc, 0, v23
                                        ; implicit-def: $vgpr17
	s_and_saveexec_b64 s[20:21], vcc
	s_xor_b64 s[20:21], exec, s[20:21]
; %bb.218:                              ;   in Loop: Header=BB4_114 Depth=3
	v_add_u32_e32 v17, 15, v26
	v_cmp_lt_u64_e32 vcc, s[44:45], v[24:25]
	v_cndmask_b32_e32 v17, v23, v17, vcc
	v_cndmask_b32_e64 v23, 0, 1, vcc
	v_lshrrev_b64 v[24:25], v23, v[24:25]
; %bb.219:                              ;   in Loop: Header=BB4_114 Depth=3
	s_andn2_saveexec_b64 s[20:21], s[20:21]
; %bb.220:                              ;   in Loop: Header=BB4_114 Depth=3
	v_bfe_u32 v17, v24, 23, 1
; %bb.221:                              ;   in Loop: Header=BB4_114 Depth=3
	s_or_b64 exec, exec, s[20:21]
	v_lshrrev_b64 v[24:25], 21, v[24:25]
	v_cmp_gt_i32_e32 vcc, 32, v17
	v_cndmask_b32_e32 v25, 0, v25, vcc
	v_cndmask_b32_e32 v24, 3, v24, vcc
	v_cmp_eq_u32_e32 vcc, 0, v17
	v_min_i32_e32 v17, 31, v17
	v_cmp_eq_u64_e64 s[20:21], 0, v[24:25]
	v_lshlrev_b32_e32 v17, 2, v17
	v_and_or_b32 v17, v24, 3, v17
	s_and_b64 s[20:21], vcc, s[20:21]
	v_cndmask_b32_e64 v17, v17, 0, s[20:21]
	v_or_b32_e32 v26, v17, v2
.LBB4_222:                              ;   in Loop: Header=BB4_114 Depth=3
	s_or_b64 exec, exec, s[54:55]
.LBB4_223:                              ;   in Loop: Header=BB4_114 Depth=3
	s_or_b64 exec, exec, s[52:53]
                                        ; implicit-def: $vgpr17
                                        ; implicit-def: $vgpr24_vgpr25
.LBB4_224:                              ;   in Loop: Header=BB4_114 Depth=3
	s_andn2_saveexec_b64 s[20:21], s[50:51]
; %bb.225:                              ;   in Loop: Header=BB4_114 Depth=3
	v_or_b32_sdwa v2, v17, s70 dst_sel:DWORD dst_unused:UNUSED_PAD src0_sel:BYTE_3 src1_sel:DWORD
	v_cmp_eq_u64_e32 vcc, 0, v[24:25]
	v_cndmask_b32_e32 v26, v2, v26, vcc
; %bb.226:                              ;   in Loop: Header=BB4_114 Depth=3
	s_or_b64 exec, exec, s[20:21]
	v_lshrrev_b32_e32 v40, 16, v16
	v_lshrrev_b32_e32 v2, 16, v54
	v_cmp_ne_u16_sdwa s[20:21], v40, v55 src0_sel:BYTE_0 src1_sel:DWORD
                                        ; implicit-def: $vgpr17
	s_and_saveexec_b64 vcc, s[14:15]
	s_xor_b64 s[50:51], exec, vcc
	s_cbranch_execz .LBB4_244
; %bb.227:                              ;   in Loop: Header=BB4_114 Depth=3
	v_mov_b32_e32 v23, 0
	v_mov_b32_e32 v17, 0
	s_and_saveexec_b64 s[52:53], s[20:21]
	s_cbranch_execz .LBB4_235
; %bb.228:                              ;   in Loop: Header=BB4_114 Depth=3
	v_cmp_ne_u16_sdwa vcc, v40, s68 src0_sel:BYTE_0 src1_sel:DWORD
	v_bfrev_b32_e32 v17, 1
	s_and_saveexec_b64 s[54:55], vcc
	s_cbranch_execz .LBB4_234
; %bb.229:                              ;   in Loop: Header=BB4_114 Depth=3
	v_and_b32_e32 v17, 0x7c0000, v16
	v_bfe_u32 v24, v16, 16, 2
	v_cmp_ne_u32_e32 vcc, s71, v17
                                        ; implicit-def: $vgpr17
	s_and_saveexec_b64 s[56:57], vcc
	s_xor_b64 s[56:57], exec, s[56:57]
	s_cbranch_execz .LBB4_231
; %bb.230:                              ;   in Loop: Header=BB4_114 Depth=3
	v_ffbh_u32_e32 v25, v24
	v_bfe_u32 v17, v16, 18, 5
	v_min_u32_e32 v25, 32, v25
	v_subrev_u32_e32 v27, 29, v25
	v_sub_u32_e32 v25, 30, v25
	v_cmp_eq_u32_e32 vcc, 0, v17
	v_lshlrev_b64 v[50:51], v27, v[40:41]
	v_cndmask_b32_e32 v17, v17, v25, vcc
	v_and_b32_e32 v27, 3, v50
	v_lshlrev_b32_e32 v25, 24, v40
	v_lshl_add_u32 v17, v17, 23, v47
	v_cndmask_b32_e32 v24, v24, v27, vcc
	v_and_or_b32 v17, v25, s67, v17
	v_lshl_or_b32 v17, v24, 21, v17
                                        ; implicit-def: $vgpr24
                                        ; implicit-def: $vgpr40
.LBB4_231:                              ;   in Loop: Header=BB4_114 Depth=3
	s_andn2_saveexec_b64 s[56:57], s[56:57]
; %bb.232:                              ;   in Loop: Header=BB4_114 Depth=3
	v_cmp_gt_i16_sdwa vcc, sext(v40), v6 src0_sel:BYTE_0 src1_sel:DWORD
	v_cndmask_b32_e32 v17, v7, v10, vcc
	v_cmp_eq_u32_e32 vcc, 0, v24
	v_cndmask_b32_e32 v17, v11, v17, vcc
; %bb.233:                              ;   in Loop: Header=BB4_114 Depth=3
	s_or_b64 exec, exec, s[56:57]
.LBB4_234:                              ;   in Loop: Header=BB4_114 Depth=3
	s_or_b64 exec, exec, s[54:55]
.LBB4_235:                              ;   in Loop: Header=BB4_114 Depth=3
	s_or_b64 exec, exec, s[52:53]
	v_and_b32_sdwa v25, v54, s64 dst_sel:DWORD dst_unused:UNUSED_PAD src0_sel:WORD_1 src1_sel:DWORD
	v_lshrrev_b32_e32 v24, 16, v54
	v_cmp_ne_u16_e32 vcc, 0, v25
	s_and_saveexec_b64 s[52:53], vcc
	s_cbranch_execz .LBB4_243
; %bb.236:                              ;   in Loop: Header=BB4_114 Depth=3
	v_cmp_ne_u16_e32 vcc, s68, v25
	v_bfrev_b32_e32 v23, 1
	s_and_saveexec_b64 s[54:55], vcc
	s_cbranch_execz .LBB4_242
; %bb.237:                              ;   in Loop: Header=BB4_114 Depth=3
	v_and_b32_e32 v23, 0x7c0000, v54
	v_bfe_u32 v25, v54, 16, 2
	v_cmp_ne_u32_e32 vcc, s71, v23
                                        ; implicit-def: $vgpr23
	s_and_saveexec_b64 s[56:57], vcc
	s_xor_b64 s[56:57], exec, s[56:57]
	s_cbranch_execz .LBB4_239
; %bb.238:                              ;   in Loop: Header=BB4_114 Depth=3
	v_ffbh_u32_e32 v24, v25
	v_bfe_u32 v23, v54, 18, 5
	v_min_u32_e32 v24, 32, v24
	v_subrev_u32_e32 v27, 29, v24
	v_sub_u32_e32 v24, 30, v24
	v_cmp_eq_u32_e32 vcc, 0, v23
	v_lshlrev_b64 v[50:51], v27, v[2:3]
	v_cndmask_b32_e32 v23, v23, v24, vcc
	v_and_b32_e32 v27, 3, v50
	v_lshlrev_b32_e32 v2, 24, v2
	v_lshl_add_u32 v23, v23, 23, v47
	v_cndmask_b32_e32 v24, v25, v27, vcc
	v_and_or_b32 v2, v2, s67, v23
	v_lshl_or_b32 v23, v24, 21, v2
                                        ; implicit-def: $vgpr25
                                        ; implicit-def: $vgpr24
.LBB4_239:                              ;   in Loop: Header=BB4_114 Depth=3
	s_andn2_saveexec_b64 s[56:57], s[56:57]
; %bb.240:                              ;   in Loop: Header=BB4_114 Depth=3
	v_cmp_gt_i16_sdwa vcc, sext(v24), v6 src0_sel:BYTE_0 src1_sel:DWORD
	v_cndmask_b32_e32 v2, v7, v10, vcc
	v_cmp_eq_u32_e32 vcc, 0, v25
	v_cndmask_b32_e32 v23, v11, v2, vcc
; %bb.241:                              ;   in Loop: Header=BB4_114 Depth=3
	s_or_b64 exec, exec, s[56:57]
.LBB4_242:                              ;   in Loop: Header=BB4_114 Depth=3
	s_or_b64 exec, exec, s[54:55]
.LBB4_243:                              ;   in Loop: Header=BB4_114 Depth=3
	s_or_b64 exec, exec, s[52:53]
	v_max_f32_e32 v2, v23, v23
	v_max_f32_e32 v17, v17, v17
	;; [unrolled: 1-line block ×3, first 2 shown]
                                        ; implicit-def: $vgpr40
                                        ; implicit-def: $vgpr2
.LBB4_244:                              ;   in Loop: Header=BB4_114 Depth=3
	s_andn2_saveexec_b64 s[50:51], s[50:51]
	s_cbranch_execz .LBB4_262
; %bb.245:                              ;   in Loop: Header=BB4_114 Depth=3
	v_mov_b32_e32 v23, 0
	v_mov_b32_e32 v17, 0
	s_and_saveexec_b64 s[52:53], s[20:21]
	s_cbranch_execz .LBB4_253
; %bb.246:                              ;   in Loop: Header=BB4_114 Depth=3
	v_cmp_ne_u16_sdwa vcc, v40, s68 src0_sel:BYTE_0 src1_sel:DWORD
	v_bfrev_b32_e32 v17, 1
	s_and_saveexec_b64 s[20:21], vcc
	s_cbranch_execz .LBB4_252
; %bb.247:                              ;   in Loop: Header=BB4_114 Depth=3
	v_and_b32_e32 v17, 0x7c0000, v16
	v_bfe_u32 v24, v16, 16, 2
	v_cmp_ne_u32_e32 vcc, s71, v17
                                        ; implicit-def: $vgpr17
	s_and_saveexec_b64 s[54:55], vcc
	s_xor_b64 s[54:55], exec, s[54:55]
	s_cbranch_execz .LBB4_249
; %bb.248:                              ;   in Loop: Header=BB4_114 Depth=3
	v_ffbh_u32_e32 v25, v24
	v_bfe_u32 v17, v16, 18, 5
	v_min_u32_e32 v25, 32, v25
	v_subrev_u32_e32 v27, 29, v25
	v_sub_u32_e32 v25, 30, v25
	v_cmp_eq_u32_e32 vcc, 0, v17
	v_lshlrev_b64 v[50:51], v27, v[40:41]
	v_cndmask_b32_e32 v17, v17, v25, vcc
	v_and_b32_e32 v27, 3, v50
	v_lshlrev_b32_e32 v25, 24, v40
	v_lshl_add_u32 v17, v17, 23, v47
	v_cndmask_b32_e32 v24, v24, v27, vcc
	v_and_or_b32 v17, v25, s67, v17
	v_lshl_or_b32 v17, v24, 21, v17
                                        ; implicit-def: $vgpr24
                                        ; implicit-def: $vgpr40
.LBB4_249:                              ;   in Loop: Header=BB4_114 Depth=3
	s_andn2_saveexec_b64 s[54:55], s[54:55]
; %bb.250:                              ;   in Loop: Header=BB4_114 Depth=3
	v_cmp_gt_i16_sdwa vcc, sext(v40), v6 src0_sel:BYTE_0 src1_sel:DWORD
	v_cndmask_b32_e32 v17, v7, v10, vcc
	v_cmp_eq_u32_e32 vcc, 0, v24
	v_cndmask_b32_e32 v17, v11, v17, vcc
; %bb.251:                              ;   in Loop: Header=BB4_114 Depth=3
	s_or_b64 exec, exec, s[54:55]
.LBB4_252:                              ;   in Loop: Header=BB4_114 Depth=3
	s_or_b64 exec, exec, s[20:21]
.LBB4_253:                              ;   in Loop: Header=BB4_114 Depth=3
	s_or_b64 exec, exec, s[52:53]
	v_and_b32_sdwa v25, v54, s64 dst_sel:DWORD dst_unused:UNUSED_PAD src0_sel:WORD_1 src1_sel:DWORD
	v_lshrrev_b32_e32 v24, 16, v54
	v_cmp_ne_u16_e32 vcc, 0, v25
	s_and_saveexec_b64 s[20:21], vcc
	s_cbranch_execz .LBB4_261
; %bb.254:                              ;   in Loop: Header=BB4_114 Depth=3
	v_cmp_ne_u16_e32 vcc, s68, v25
	v_bfrev_b32_e32 v23, 1
	s_and_saveexec_b64 s[52:53], vcc
	s_cbranch_execz .LBB4_260
; %bb.255:                              ;   in Loop: Header=BB4_114 Depth=3
	v_and_b32_e32 v23, 0x7c0000, v54
	v_bfe_u32 v25, v54, 16, 2
	v_cmp_ne_u32_e32 vcc, s71, v23
                                        ; implicit-def: $vgpr23
	s_and_saveexec_b64 s[54:55], vcc
	s_xor_b64 s[54:55], exec, s[54:55]
	s_cbranch_execz .LBB4_257
; %bb.256:                              ;   in Loop: Header=BB4_114 Depth=3
	v_ffbh_u32_e32 v24, v25
	v_bfe_u32 v23, v54, 18, 5
	v_min_u32_e32 v24, 32, v24
	v_subrev_u32_e32 v27, 29, v24
	v_sub_u32_e32 v24, 30, v24
	v_cmp_eq_u32_e32 vcc, 0, v23
	v_lshlrev_b64 v[50:51], v27, v[2:3]
	v_cndmask_b32_e32 v23, v23, v24, vcc
	v_and_b32_e32 v27, 3, v50
	v_lshlrev_b32_e32 v2, 24, v2
	v_lshl_add_u32 v23, v23, 23, v47
	v_cndmask_b32_e32 v24, v25, v27, vcc
	v_and_or_b32 v2, v2, s67, v23
	v_lshl_or_b32 v23, v24, 21, v2
                                        ; implicit-def: $vgpr25
                                        ; implicit-def: $vgpr24
.LBB4_257:                              ;   in Loop: Header=BB4_114 Depth=3
	s_andn2_saveexec_b64 s[54:55], s[54:55]
; %bb.258:                              ;   in Loop: Header=BB4_114 Depth=3
	v_cmp_gt_i16_sdwa vcc, sext(v24), v6 src0_sel:BYTE_0 src1_sel:DWORD
	v_cndmask_b32_e32 v2, v7, v10, vcc
	v_cmp_eq_u32_e32 vcc, 0, v25
	v_cndmask_b32_e32 v23, v11, v2, vcc
; %bb.259:                              ;   in Loop: Header=BB4_114 Depth=3
	s_or_b64 exec, exec, s[54:55]
.LBB4_260:                              ;   in Loop: Header=BB4_114 Depth=3
	s_or_b64 exec, exec, s[52:53]
.LBB4_261:                              ;   in Loop: Header=BB4_114 Depth=3
	s_or_b64 exec, exec, s[20:21]
	v_max_f32_e32 v2, v23, v23
	v_max_f32_e32 v17, v17, v17
	v_min_f32_e32 v17, v17, v2
.LBB4_262:                              ;   in Loop: Header=BB4_114 Depth=3
	s_or_b64 exec, exec, s[50:51]
	v_and_b32_sdwa v2, v17, s68 dst_sel:DWORD dst_unused:UNUSED_PAD src0_sel:BYTE_3 src1_sel:DWORD
	v_and_b32_e32 v50, 0x7f800000, v17
	v_mov_b32_e32 v51, v55
	v_and_b32_e32 v24, 0x7fffff, v17
	v_mov_b32_e32 v25, v55
	v_or_b32_e32 v27, 0x7b, v2
	v_cmp_ne_u64_e32 vcc, s[40:41], v[50:51]
	s_and_saveexec_b64 s[20:21], vcc
	s_xor_b64 s[50:51], exec, s[20:21]
	s_cbranch_execz .LBB4_272
; %bb.263:                              ;   in Loop: Header=BB4_114 Depth=3
	v_and_b32_e32 v50, 0x7fffffff, v17
	v_mov_b32_e32 v51, v55
	v_cmp_gt_u64_e32 vcc, s[42:43], v[50:51]
	s_and_saveexec_b64 s[52:53], vcc
	s_cbranch_execz .LBB4_271
; %bb.264:                              ;   in Loop: Header=BB4_114 Depth=3
	v_cmp_ne_u32_e32 vcc, 0, v17
	v_mov_b32_e32 v27, 0
	s_and_saveexec_b64 s[54:55], vcc
	s_cbranch_execz .LBB4_270
; %bb.265:                              ;   in Loop: Header=BB4_114 Depth=3
	v_bfe_u32 v17, v17, 23, 8
	v_sub_u32_e32 v27, 0x71, v17
	v_cmp_gt_u32_e32 vcc, s69, v17
	v_add_u32_e32 v23, 0xffffff81, v17
	v_cndmask_b32_e32 v27, 0, v27, vcc
	v_cmp_eq_u32_e32 vcc, 0, v17
	v_cndmask_b32_e32 v17, v23, v30, vcc
	v_cndmask_b32_e32 v23, v27, v48, vcc
	v_add_u32_e32 v27, 21, v23
	v_or_b32_e32 v37, 0x800000, v24
	v_lshlrev_b64 v[50:51], v27, -1
	v_cndmask_b32_e32 v24, v37, v24, vcc
	v_not_b32_e32 v27, v51
	v_not_b32_e32 v37, v50
	v_and_b32_e32 v51, 0, v27
	v_and_b32_e32 v50, v24, v37
	v_add_u32_e32 v27, 20, v23
	v_lshrrev_b64 v[24:25], v23, v[24:25]
	v_lshlrev_b64 v[40:41], v27, 1
	v_lshrrev_b32_e32 v27, 23, v24
	v_add3_u32 v27, v23, v17, v27
	v_bfe_u32 v17, v24, 21, 1
	v_add_u32_e32 v17, -1, v17
	v_cmp_eq_u64_e32 vcc, v[50:51], v[40:41]
	v_cndmask_b32_e32 v17, 0, v17, vcc
	v_add_u32_e32 v17, v17, v24
	v_and_b32_e32 v17, 0x1fffff, v17
	v_add_co_u32_e32 v24, vcc, v17, v24
	v_add_u32_e32 v23, 14, v27
	v_addc_co_u32_e32 v25, vcc, 0, v25, vcc
	v_cmp_ne_u32_e32 vcc, 0, v23
                                        ; implicit-def: $vgpr17
	s_and_saveexec_b64 s[20:21], vcc
	s_xor_b64 s[20:21], exec, s[20:21]
; %bb.266:                              ;   in Loop: Header=BB4_114 Depth=3
	v_add_u32_e32 v17, 15, v27
	v_cmp_lt_u64_e32 vcc, s[44:45], v[24:25]
	v_cndmask_b32_e32 v17, v23, v17, vcc
	v_cndmask_b32_e64 v23, 0, 1, vcc
	v_lshrrev_b64 v[24:25], v23, v[24:25]
; %bb.267:                              ;   in Loop: Header=BB4_114 Depth=3
	s_andn2_saveexec_b64 s[20:21], s[20:21]
; %bb.268:                              ;   in Loop: Header=BB4_114 Depth=3
	v_bfe_u32 v17, v24, 23, 1
; %bb.269:                              ;   in Loop: Header=BB4_114 Depth=3
	s_or_b64 exec, exec, s[20:21]
	v_lshrrev_b64 v[24:25], 21, v[24:25]
	v_cmp_gt_i32_e32 vcc, 32, v17
	v_cndmask_b32_e32 v25, 0, v25, vcc
	v_cndmask_b32_e32 v24, 3, v24, vcc
	v_cmp_eq_u32_e32 vcc, 0, v17
	v_min_i32_e32 v17, 31, v17
	v_cmp_eq_u64_e64 s[20:21], 0, v[24:25]
	v_lshlrev_b32_e32 v17, 2, v17
	v_and_or_b32 v17, v24, 3, v17
	s_and_b64 s[20:21], vcc, s[20:21]
	v_cndmask_b32_e64 v17, v17, 0, s[20:21]
	v_or_b32_e32 v27, v17, v2
.LBB4_270:                              ;   in Loop: Header=BB4_114 Depth=3
	s_or_b64 exec, exec, s[54:55]
.LBB4_271:                              ;   in Loop: Header=BB4_114 Depth=3
	s_or_b64 exec, exec, s[52:53]
                                        ; implicit-def: $vgpr17
                                        ; implicit-def: $vgpr24_vgpr25
.LBB4_272:                              ;   in Loop: Header=BB4_114 Depth=3
	s_andn2_saveexec_b64 s[20:21], s[50:51]
; %bb.273:                              ;   in Loop: Header=BB4_114 Depth=3
	v_or_b32_sdwa v2, v17, s70 dst_sel:DWORD dst_unused:UNUSED_PAD src0_sel:BYTE_3 src1_sel:DWORD
	v_cmp_eq_u64_e32 vcc, 0, v[24:25]
	v_cndmask_b32_e32 v27, v2, v27, vcc
; %bb.274:                              ;   in Loop: Header=BB4_114 Depth=3
	s_or_b64 exec, exec, s[20:21]
	v_lshrrev_b32_e32 v24, 24, v16
	v_lshrrev_b32_e32 v2, 24, v54
	v_cmp_lt_u32_e32 vcc, s39, v16
                                        ; implicit-def: $vgpr17
	s_and_saveexec_b64 s[20:21], s[14:15]
	s_xor_b64 s[50:51], exec, s[20:21]
	s_cbranch_execz .LBB4_292
; %bb.275:                              ;   in Loop: Header=BB4_114 Depth=3
	v_mov_b32_e32 v23, 0
	v_mov_b32_e32 v17, 0
	s_and_saveexec_b64 s[52:53], vcc
	s_cbranch_execz .LBB4_283
; %bb.276:                              ;   in Loop: Header=BB4_114 Depth=3
	v_cmp_ne_u32_e64 s[20:21], s68, v24
	v_bfrev_b32_e32 v17, 1
	s_and_saveexec_b64 s[54:55], s[20:21]
	s_cbranch_execz .LBB4_282
; %bb.277:                              ;   in Loop: Header=BB4_114 Depth=3
	v_and_b32_e32 v17, 0x7c000000, v16
	v_bfe_u32 v25, v16, 24, 2
	v_cmp_ne_u32_e64 s[20:21], s72, v17
                                        ; implicit-def: $vgpr17
	s_and_saveexec_b64 s[56:57], s[20:21]
	s_xor_b64 s[56:57], exec, s[56:57]
	s_cbranch_execz .LBB4_279
; %bb.278:                              ;   in Loop: Header=BB4_114 Depth=3
	v_ffbh_u32_e32 v37, v25
	v_min_u32_e32 v37, 32, v37
	v_bfe_u32 v17, v16, 26, 5
	v_subrev_u32_e32 v50, 29, v37
	v_lshlrev_b64 v[50:51], v50, v[24:25]
	v_sub_u32_e32 v24, 30, v37
	v_cmp_eq_u32_e64 s[20:21], 0, v17
	v_cndmask_b32_e64 v17, v17, v24, s[20:21]
	v_and_b32_e32 v37, 3, v50
	v_lshl_add_u32 v17, v17, 23, v47
	v_cndmask_b32_e64 v24, v25, v37, s[20:21]
	v_and_or_b32 v16, v16, s67, v17
	v_lshl_or_b32 v17, v24, 21, v16
                                        ; implicit-def: $vgpr25
.LBB4_279:                              ;   in Loop: Header=BB4_114 Depth=3
	s_andn2_saveexec_b64 s[56:57], s[56:57]
; %bb.280:                              ;   in Loop: Header=BB4_114 Depth=3
	v_cmp_lt_i32_e64 s[20:21], -1, v16
	v_cndmask_b32_e64 v16, v7, v10, s[20:21]
	v_cmp_eq_u32_e64 s[20:21], 0, v25
	v_cndmask_b32_e64 v17, v11, v16, s[20:21]
; %bb.281:                              ;   in Loop: Header=BB4_114 Depth=3
	s_or_b64 exec, exec, s[56:57]
.LBB4_282:                              ;   in Loop: Header=BB4_114 Depth=3
	s_or_b64 exec, exec, s[54:55]
.LBB4_283:                              ;   in Loop: Header=BB4_114 Depth=3
	s_or_b64 exec, exec, s[52:53]
	v_cmp_lt_u32_e64 s[20:21], s39, v54
	s_and_saveexec_b64 s[52:53], s[20:21]
	s_cbranch_execz .LBB4_291
; %bb.284:                              ;   in Loop: Header=BB4_114 Depth=3
	v_cmp_ne_u32_e64 s[20:21], s68, v2
	v_bfrev_b32_e32 v23, 1
	s_and_saveexec_b64 s[54:55], s[20:21]
	s_cbranch_execz .LBB4_290
; %bb.285:                              ;   in Loop: Header=BB4_114 Depth=3
	v_and_b32_e32 v23, 0x7c000000, v54
	v_bfe_u32 v16, v54, 24, 2
	v_cmp_ne_u32_e64 s[20:21], s72, v23
                                        ; implicit-def: $vgpr23
	s_and_saveexec_b64 s[56:57], s[20:21]
	s_xor_b64 s[56:57], exec, s[56:57]
	s_cbranch_execz .LBB4_287
; %bb.286:                              ;   in Loop: Header=BB4_114 Depth=3
	v_ffbh_u32_e32 v24, v16
	v_min_u32_e32 v37, 32, v24
	v_bfe_u32 v23, v54, 26, 5
	v_subrev_u32_e32 v24, 29, v37
	v_lshlrev_b64 v[24:25], v24, v[2:3]
	v_sub_u32_e32 v2, 30, v37
	v_cmp_eq_u32_e64 s[20:21], 0, v23
	v_cndmask_b32_e64 v2, v23, v2, s[20:21]
	v_and_b32_e32 v24, 3, v24
	v_lshl_add_u32 v2, v2, 23, v47
	v_cndmask_b32_e64 v16, v16, v24, s[20:21]
	v_and_or_b32 v2, v54, s67, v2
	v_lshl_or_b32 v23, v16, 21, v2
                                        ; implicit-def: $vgpr16
.LBB4_287:                              ;   in Loop: Header=BB4_114 Depth=3
	s_andn2_saveexec_b64 s[56:57], s[56:57]
; %bb.288:                              ;   in Loop: Header=BB4_114 Depth=3
	v_cmp_lt_i32_e64 s[20:21], -1, v54
	v_cndmask_b32_e64 v2, v7, v10, s[20:21]
	v_cmp_eq_u32_e64 s[20:21], 0, v16
	v_cndmask_b32_e64 v23, v11, v2, s[20:21]
; %bb.289:                              ;   in Loop: Header=BB4_114 Depth=3
	s_or_b64 exec, exec, s[56:57]
.LBB4_290:                              ;   in Loop: Header=BB4_114 Depth=3
	s_or_b64 exec, exec, s[54:55]
.LBB4_291:                              ;   in Loop: Header=BB4_114 Depth=3
	s_or_b64 exec, exec, s[52:53]
	v_max_f32_e32 v2, v23, v23
	v_max_f32_e32 v16, v17, v17
	;; [unrolled: 1-line block ×3, first 2 shown]
                                        ; implicit-def: $vgpr2
                                        ; implicit-def: $vgpr24
.LBB4_292:                              ;   in Loop: Header=BB4_114 Depth=3
	s_andn2_saveexec_b64 s[20:21], s[50:51]
	s_cbranch_execz .LBB4_310
; %bb.293:                              ;   in Loop: Header=BB4_114 Depth=3
	v_mov_b32_e32 v23, 0
	v_mov_b32_e32 v17, 0
	s_and_saveexec_b64 s[50:51], vcc
	s_cbranch_execz .LBB4_301
; %bb.294:                              ;   in Loop: Header=BB4_114 Depth=3
	v_cmp_ne_u32_e32 vcc, s68, v24
	v_bfrev_b32_e32 v17, 1
	s_and_saveexec_b64 s[52:53], vcc
	s_cbranch_execz .LBB4_300
; %bb.295:                              ;   in Loop: Header=BB4_114 Depth=3
	v_and_b32_e32 v17, 0x7c000000, v16
	v_bfe_u32 v25, v16, 24, 2
	v_cmp_ne_u32_e32 vcc, s72, v17
                                        ; implicit-def: $vgpr17
	s_and_saveexec_b64 s[54:55], vcc
	s_xor_b64 s[54:55], exec, s[54:55]
	s_cbranch_execz .LBB4_297
; %bb.296:                              ;   in Loop: Header=BB4_114 Depth=3
	v_ffbh_u32_e32 v37, v25
	v_min_u32_e32 v37, 32, v37
	v_bfe_u32 v17, v16, 26, 5
	v_subrev_u32_e32 v50, 29, v37
	v_lshlrev_b64 v[50:51], v50, v[24:25]
	v_sub_u32_e32 v24, 30, v37
	v_cmp_eq_u32_e32 vcc, 0, v17
	v_cndmask_b32_e32 v17, v17, v24, vcc
	v_and_b32_e32 v37, 3, v50
	v_lshl_add_u32 v17, v17, 23, v47
	v_cndmask_b32_e32 v24, v25, v37, vcc
	v_and_or_b32 v16, v16, s67, v17
	v_lshl_or_b32 v17, v24, 21, v16
                                        ; implicit-def: $vgpr25
.LBB4_297:                              ;   in Loop: Header=BB4_114 Depth=3
	s_andn2_saveexec_b64 s[54:55], s[54:55]
; %bb.298:                              ;   in Loop: Header=BB4_114 Depth=3
	v_cmp_lt_i32_e32 vcc, -1, v16
	v_cndmask_b32_e32 v16, v7, v10, vcc
	v_cmp_eq_u32_e32 vcc, 0, v25
	v_cndmask_b32_e32 v17, v11, v16, vcc
; %bb.299:                              ;   in Loop: Header=BB4_114 Depth=3
	s_or_b64 exec, exec, s[54:55]
.LBB4_300:                              ;   in Loop: Header=BB4_114 Depth=3
	s_or_b64 exec, exec, s[52:53]
.LBB4_301:                              ;   in Loop: Header=BB4_114 Depth=3
	s_or_b64 exec, exec, s[50:51]
	v_cmp_lt_u32_e32 vcc, s39, v54
	s_and_saveexec_b64 s[50:51], vcc
	s_cbranch_execz .LBB4_309
; %bb.302:                              ;   in Loop: Header=BB4_114 Depth=3
	v_cmp_ne_u32_e32 vcc, s68, v2
	v_bfrev_b32_e32 v23, 1
	s_and_saveexec_b64 s[52:53], vcc
	s_cbranch_execz .LBB4_308
; %bb.303:                              ;   in Loop: Header=BB4_114 Depth=3
	v_and_b32_e32 v23, 0x7c000000, v54
	v_bfe_u32 v16, v54, 24, 2
	v_cmp_ne_u32_e32 vcc, s72, v23
                                        ; implicit-def: $vgpr23
	s_and_saveexec_b64 s[54:55], vcc
	s_xor_b64 s[54:55], exec, s[54:55]
	s_cbranch_execz .LBB4_305
; %bb.304:                              ;   in Loop: Header=BB4_114 Depth=3
	v_ffbh_u32_e32 v24, v16
	v_min_u32_e32 v37, 32, v24
	v_bfe_u32 v23, v54, 26, 5
	v_subrev_u32_e32 v24, 29, v37
	v_lshlrev_b64 v[24:25], v24, v[2:3]
	v_sub_u32_e32 v2, 30, v37
	v_cmp_eq_u32_e32 vcc, 0, v23
	v_cndmask_b32_e32 v2, v23, v2, vcc
	v_and_b32_e32 v24, 3, v24
	v_lshl_add_u32 v2, v2, 23, v47
	v_cndmask_b32_e32 v16, v16, v24, vcc
	v_and_or_b32 v2, v54, s67, v2
	v_lshl_or_b32 v23, v16, 21, v2
                                        ; implicit-def: $vgpr16
.LBB4_305:                              ;   in Loop: Header=BB4_114 Depth=3
	s_andn2_saveexec_b64 s[54:55], s[54:55]
; %bb.306:                              ;   in Loop: Header=BB4_114 Depth=3
	v_cmp_lt_i32_e32 vcc, -1, v54
	v_cndmask_b32_e32 v2, v7, v10, vcc
	v_cmp_eq_u32_e32 vcc, 0, v16
	v_cndmask_b32_e32 v23, v11, v2, vcc
; %bb.307:                              ;   in Loop: Header=BB4_114 Depth=3
	s_or_b64 exec, exec, s[54:55]
.LBB4_308:                              ;   in Loop: Header=BB4_114 Depth=3
	s_or_b64 exec, exec, s[52:53]
.LBB4_309:                              ;   in Loop: Header=BB4_114 Depth=3
	s_or_b64 exec, exec, s[50:51]
	v_max_f32_e32 v2, v23, v23
	v_max_f32_e32 v16, v17, v17
	v_min_f32_e32 v17, v16, v2
.LBB4_310:                              ;   in Loop: Header=BB4_114 Depth=3
	s_or_b64 exec, exec, s[20:21]
	v_and_b32_sdwa v2, v17, s68 dst_sel:DWORD dst_unused:UNUSED_PAD src0_sel:BYTE_3 src1_sel:DWORD
	v_and_b32_e32 v24, 0x7f800000, v17
	v_mov_b32_e32 v25, v55
	v_and_b32_e32 v54, 0x7fffff, v17
	v_or_b32_e32 v23, 0x7b, v2
	v_cmp_ne_u64_e32 vcc, s[40:41], v[24:25]
	s_and_saveexec_b64 s[20:21], vcc
	s_xor_b64 s[50:51], exec, s[20:21]
	s_cbranch_execz .LBB4_320
; %bb.311:                              ;   in Loop: Header=BB4_114 Depth=3
	v_and_b32_e32 v24, 0x7fffffff, v17
	v_mov_b32_e32 v25, v55
	v_cmp_gt_u64_e32 vcc, s[42:43], v[24:25]
	s_and_saveexec_b64 s[52:53], vcc
	s_cbranch_execz .LBB4_319
; %bb.312:                              ;   in Loop: Header=BB4_114 Depth=3
	v_cmp_ne_u32_e32 vcc, 0, v17
	v_mov_b32_e32 v23, 0
	s_and_saveexec_b64 s[54:55], vcc
	s_cbranch_execz .LBB4_318
; %bb.313:                              ;   in Loop: Header=BB4_114 Depth=3
	v_bfe_u32 v16, v17, 23, 8
	v_sub_u32_e32 v23, 0x71, v16
	v_cmp_gt_u32_e32 vcc, s69, v16
	v_cndmask_b32_e32 v23, 0, v23, vcc
	v_cmp_eq_u32_e32 vcc, 0, v16
	v_or_b32_e32 v24, 0x800000, v54
	v_cndmask_b32_e32 v23, v23, v48, vcc
	v_add_u32_e32 v17, 0xffffff81, v16
	v_cndmask_b32_e32 v54, v24, v54, vcc
	v_add_u32_e32 v16, 21, v23
	v_cndmask_b32_e32 v25, v17, v30, vcc
	v_lshlrev_b64 v[16:17], v16, -1
	v_add_u32_e32 v24, 20, v23
	v_lshrrev_b64 v[40:41], v23, v[54:55]
	v_not_b32_e32 v17, v17
	v_not_b32_e32 v16, v16
	v_lshlrev_b64 v[50:51], v24, 1
	v_lshrrev_b32_e32 v24, 23, v40
	v_and_b32_e32 v17, 0, v17
	v_and_b32_e32 v16, v54, v16
	v_add3_u32 v25, v23, v25, v24
	v_bfe_u32 v23, v40, 21, 1
	v_add_u32_e32 v23, -1, v23
	v_cmp_eq_u64_e32 vcc, v[16:17], v[50:51]
	v_cndmask_b32_e32 v16, 0, v23, vcc
	v_add_u32_e32 v16, v16, v40
	v_and_b32_e32 v16, 0x1fffff, v16
	v_add_co_u32_e32 v16, vcc, v16, v40
	v_add_u32_e32 v24, 14, v25
	v_addc_co_u32_e32 v17, vcc, 0, v41, vcc
	v_cmp_ne_u32_e32 vcc, 0, v24
                                        ; implicit-def: $vgpr23
	s_and_saveexec_b64 s[20:21], vcc
	s_xor_b64 s[20:21], exec, s[20:21]
; %bb.314:                              ;   in Loop: Header=BB4_114 Depth=3
	v_add_u32_e32 v23, 15, v25
	v_cmp_lt_u64_e32 vcc, s[44:45], v[16:17]
	v_cndmask_b32_e32 v23, v24, v23, vcc
	v_cndmask_b32_e64 v24, 0, 1, vcc
	v_lshrrev_b64 v[16:17], v24, v[16:17]
; %bb.315:                              ;   in Loop: Header=BB4_114 Depth=3
	s_andn2_saveexec_b64 s[20:21], s[20:21]
; %bb.316:                              ;   in Loop: Header=BB4_114 Depth=3
	v_bfe_u32 v23, v16, 23, 1
; %bb.317:                              ;   in Loop: Header=BB4_114 Depth=3
	s_or_b64 exec, exec, s[20:21]
	v_lshrrev_b64 v[16:17], 21, v[16:17]
	v_cmp_gt_i32_e32 vcc, 32, v23
	v_cndmask_b32_e32 v17, 0, v17, vcc
	v_cndmask_b32_e32 v16, 3, v16, vcc
	v_cmp_eq_u64_e64 s[20:21], 0, v[16:17]
	v_min_i32_e32 v17, 31, v23
	v_cmp_eq_u32_e32 vcc, 0, v23
	v_lshlrev_b32_e32 v17, 2, v17
	v_and_or_b32 v16, v16, 3, v17
	s_and_b64 s[20:21], vcc, s[20:21]
	v_cndmask_b32_e64 v16, v16, 0, s[20:21]
	v_or_b32_e32 v23, v16, v2
.LBB4_318:                              ;   in Loop: Header=BB4_114 Depth=3
	s_or_b64 exec, exec, s[54:55]
.LBB4_319:                              ;   in Loop: Header=BB4_114 Depth=3
	s_or_b64 exec, exec, s[52:53]
                                        ; implicit-def: $vgpr17
.LBB4_320:                              ;   in Loop: Header=BB4_114 Depth=3
	s_andn2_saveexec_b64 s[20:21], s[50:51]
; %bb.321:                              ;   in Loop: Header=BB4_114 Depth=3
	v_or_b32_sdwa v2, v17, s70 dst_sel:DWORD dst_unused:UNUSED_PAD src0_sel:BYTE_3 src1_sel:DWORD
	v_cmp_eq_u64_e32 vcc, 0, v[54:55]
	v_cndmask_b32_e32 v23, v2, v23, vcc
; %bb.322:                              ;   in Loop: Header=BB4_114 Depth=3
	s_or_b64 exec, exec, s[20:21]
	v_alignbit_b32 v54, v46, v22, v36
	v_cmp_ne_u16_sdwa s[20:21], v18, v55 src0_sel:BYTE_0 src1_sel:DWORD
                                        ; implicit-def: $vgpr24
	s_and_saveexec_b64 vcc, s[14:15]
	s_xor_b64 s[50:51], exec, vcc
	s_cbranch_execz .LBB4_340
; %bb.323:                              ;   in Loop: Header=BB4_114 Depth=3
	v_mov_b32_e32 v16, 0
	v_mov_b32_e32 v2, 0
	s_and_saveexec_b64 s[52:53], s[20:21]
	s_cbranch_execz .LBB4_331
; %bb.324:                              ;   in Loop: Header=BB4_114 Depth=3
	v_cmp_ne_u16_sdwa vcc, sext(v18), s65 src0_sel:BYTE_0 src1_sel:DWORD
	v_bfrev_b32_e32 v2, 1
	s_and_saveexec_b64 s[54:55], vcc
	s_cbranch_execz .LBB4_330
; %bb.325:                              ;   in Loop: Header=BB4_114 Depth=3
	v_and_b32_e32 v2, 0x7c, v18
	v_and_b32_e32 v17, 3, v18
	v_cmp_ne_u32_e32 vcc, s66, v2
                                        ; implicit-def: $vgpr2
	s_and_saveexec_b64 s[56:57], vcc
	s_xor_b64 s[56:57], exec, s[56:57]
	s_cbranch_execz .LBB4_327
; %bb.326:                              ;   in Loop: Header=BB4_114 Depth=3
	v_ffbh_u32_e32 v22, v17
	v_bfe_u32 v2, v18, 2, 5
	v_min_u32_e32 v22, 32, v22
	v_subrev_u32_e32 v24, 29, v22
	v_sub_u32_e32 v22, 30, v22
	v_cmp_eq_u32_e32 vcc, 0, v2
	v_lshlrev_b64 v[24:25], v24, v[18:19]
	v_cndmask_b32_e32 v2, v2, v22, vcc
	v_and_b32_e32 v24, 3, v24
	v_lshlrev_b32_e32 v22, 24, v18
	v_lshl_add_u32 v2, v2, 23, v47
	v_cndmask_b32_e32 v17, v17, v24, vcc
	v_and_or_b32 v2, v22, s67, v2
	v_lshl_or_b32 v2, v17, 21, v2
                                        ; implicit-def: $vgpr17
.LBB4_327:                              ;   in Loop: Header=BB4_114 Depth=3
	s_andn2_saveexec_b64 s[56:57], s[56:57]
; %bb.328:                              ;   in Loop: Header=BB4_114 Depth=3
	v_cmp_gt_i16_sdwa vcc, sext(v18), v6 src0_sel:BYTE_0 src1_sel:DWORD
	v_cndmask_b32_e32 v2, v7, v10, vcc
	v_cmp_eq_u32_e32 vcc, 0, v17
	v_cndmask_b32_e32 v2, v11, v2, vcc
; %bb.329:                              ;   in Loop: Header=BB4_114 Depth=3
	s_or_b64 exec, exec, s[56:57]
.LBB4_330:                              ;   in Loop: Header=BB4_114 Depth=3
	s_or_b64 exec, exec, s[54:55]
.LBB4_331:                              ;   in Loop: Header=BB4_114 Depth=3
	s_or_b64 exec, exec, s[52:53]
	v_cmp_ne_u16_sdwa vcc, sext(v54), v55 src0_sel:BYTE_0 src1_sel:DWORD
	s_and_saveexec_b64 s[52:53], vcc
	s_cbranch_execz .LBB4_339
; %bb.332:                              ;   in Loop: Header=BB4_114 Depth=3
	v_cmp_ne_u16_sdwa vcc, sext(v54), s65 src0_sel:BYTE_0 src1_sel:DWORD
	v_bfrev_b32_e32 v16, 1
	s_and_saveexec_b64 s[54:55], vcc
	s_cbranch_execz .LBB4_338
; %bb.333:                              ;   in Loop: Header=BB4_114 Depth=3
	v_and_b32_e32 v16, 0x7c, v54
	v_and_b32_e32 v17, 3, v54
	v_cmp_ne_u32_e32 vcc, s66, v16
                                        ; implicit-def: $vgpr16
	s_and_saveexec_b64 s[56:57], vcc
	s_xor_b64 s[56:57], exec, s[56:57]
	s_cbranch_execz .LBB4_335
; %bb.334:                              ;   in Loop: Header=BB4_114 Depth=3
	v_ffbh_u32_e32 v22, v17
	v_bfe_u32 v16, v54, 2, 5
	v_min_u32_e32 v22, 32, v22
	v_subrev_u32_e32 v24, 29, v22
	v_sub_u32_e32 v22, 30, v22
	v_cmp_eq_u32_e32 vcc, 0, v16
	v_lshlrev_b64 v[24:25], v24, v[54:55]
	v_cndmask_b32_e32 v16, v16, v22, vcc
	v_and_b32_e32 v24, 3, v24
	v_lshlrev_b32_e32 v22, 24, v54
	v_lshl_add_u32 v16, v16, 23, v47
	v_cndmask_b32_e32 v17, v17, v24, vcc
	v_and_or_b32 v16, v22, s67, v16
	v_lshl_or_b32 v16, v17, 21, v16
                                        ; implicit-def: $vgpr17
.LBB4_335:                              ;   in Loop: Header=BB4_114 Depth=3
	s_andn2_saveexec_b64 s[56:57], s[56:57]
; %bb.336:                              ;   in Loop: Header=BB4_114 Depth=3
	v_cmp_gt_i16_sdwa vcc, sext(v54), v6 src0_sel:BYTE_0 src1_sel:DWORD
	v_cndmask_b32_e32 v16, v7, v10, vcc
	v_cmp_eq_u32_e32 vcc, 0, v17
	v_cndmask_b32_e32 v16, v11, v16, vcc
; %bb.337:                              ;   in Loop: Header=BB4_114 Depth=3
	s_or_b64 exec, exec, s[56:57]
.LBB4_338:                              ;   in Loop: Header=BB4_114 Depth=3
	s_or_b64 exec, exec, s[54:55]
.LBB4_339:                              ;   in Loop: Header=BB4_114 Depth=3
	s_or_b64 exec, exec, s[52:53]
	v_max_f32_e32 v16, v16, v16
	v_max_f32_e32 v2, v2, v2
	;; [unrolled: 1-line block ×3, first 2 shown]
.LBB4_340:                              ;   in Loop: Header=BB4_114 Depth=3
	s_andn2_saveexec_b64 s[50:51], s[50:51]
	s_cbranch_execz .LBB4_358
; %bb.341:                              ;   in Loop: Header=BB4_114 Depth=3
	v_mov_b32_e32 v16, 0
	v_mov_b32_e32 v2, 0
	s_and_saveexec_b64 s[52:53], s[20:21]
	s_cbranch_execz .LBB4_349
; %bb.342:                              ;   in Loop: Header=BB4_114 Depth=3
	v_cmp_ne_u16_sdwa vcc, sext(v18), s65 src0_sel:BYTE_0 src1_sel:DWORD
	v_bfrev_b32_e32 v2, 1
	s_and_saveexec_b64 s[20:21], vcc
	s_cbranch_execz .LBB4_348
; %bb.343:                              ;   in Loop: Header=BB4_114 Depth=3
	v_and_b32_e32 v2, 0x7c, v18
	v_and_b32_e32 v17, 3, v18
	v_cmp_ne_u32_e32 vcc, s66, v2
                                        ; implicit-def: $vgpr2
	s_and_saveexec_b64 s[54:55], vcc
	s_xor_b64 s[54:55], exec, s[54:55]
	s_cbranch_execz .LBB4_345
; %bb.344:                              ;   in Loop: Header=BB4_114 Depth=3
	v_ffbh_u32_e32 v22, v17
	v_min_u32_e32 v22, 32, v22
	v_bfe_u32 v2, v18, 2, 5
	v_subrev_u32_e32 v24, 29, v22
	v_lshlrev_b64 v[24:25], v24, v[18:19]
	v_sub_u32_e32 v19, 30, v22
	v_cmp_eq_u32_e32 vcc, 0, v2
	v_cndmask_b32_e32 v2, v2, v19, vcc
	v_and_b32_e32 v22, 3, v24
	v_lshlrev_b32_e32 v19, 24, v18
	v_lshl_add_u32 v2, v2, 23, v47
	v_cndmask_b32_e32 v17, v17, v22, vcc
	v_and_or_b32 v2, v19, s67, v2
	v_lshl_or_b32 v2, v17, 21, v2
                                        ; implicit-def: $vgpr17
.LBB4_345:                              ;   in Loop: Header=BB4_114 Depth=3
	s_andn2_saveexec_b64 s[54:55], s[54:55]
; %bb.346:                              ;   in Loop: Header=BB4_114 Depth=3
	v_cmp_gt_i16_sdwa vcc, sext(v18), v6 src0_sel:BYTE_0 src1_sel:DWORD
	v_cndmask_b32_e32 v2, v7, v10, vcc
	v_cmp_eq_u32_e32 vcc, 0, v17
	v_cndmask_b32_e32 v2, v11, v2, vcc
; %bb.347:                              ;   in Loop: Header=BB4_114 Depth=3
	s_or_b64 exec, exec, s[54:55]
.LBB4_348:                              ;   in Loop: Header=BB4_114 Depth=3
	s_or_b64 exec, exec, s[20:21]
.LBB4_349:                              ;   in Loop: Header=BB4_114 Depth=3
	s_or_b64 exec, exec, s[52:53]
	v_cmp_ne_u16_sdwa vcc, sext(v54), v55 src0_sel:BYTE_0 src1_sel:DWORD
	s_and_saveexec_b64 s[20:21], vcc
	s_cbranch_execz .LBB4_357
; %bb.350:                              ;   in Loop: Header=BB4_114 Depth=3
	v_cmp_ne_u16_sdwa vcc, sext(v54), s65 src0_sel:BYTE_0 src1_sel:DWORD
	v_bfrev_b32_e32 v16, 1
	s_and_saveexec_b64 s[52:53], vcc
	s_cbranch_execz .LBB4_356
; %bb.351:                              ;   in Loop: Header=BB4_114 Depth=3
	v_and_b32_e32 v16, 0x7c, v54
	v_and_b32_e32 v17, 3, v54
	v_cmp_ne_u32_e32 vcc, s66, v16
                                        ; implicit-def: $vgpr16
	s_and_saveexec_b64 s[54:55], vcc
	s_xor_b64 s[54:55], exec, s[54:55]
	s_cbranch_execz .LBB4_353
; %bb.352:                              ;   in Loop: Header=BB4_114 Depth=3
	v_ffbh_u32_e32 v19, v17
	v_bfe_u32 v16, v54, 2, 5
	v_min_u32_e32 v19, 32, v19
	v_subrev_u32_e32 v22, 29, v19
	v_sub_u32_e32 v19, 30, v19
	v_cmp_eq_u32_e32 vcc, 0, v16
	v_lshlrev_b64 v[24:25], v22, v[54:55]
	v_cndmask_b32_e32 v16, v16, v19, vcc
	v_and_b32_e32 v22, 3, v24
	v_lshlrev_b32_e32 v19, 24, v54
	v_lshl_add_u32 v16, v16, 23, v47
	v_cndmask_b32_e32 v17, v17, v22, vcc
	v_and_or_b32 v16, v19, s67, v16
	v_lshl_or_b32 v16, v17, 21, v16
                                        ; implicit-def: $vgpr17
.LBB4_353:                              ;   in Loop: Header=BB4_114 Depth=3
	s_andn2_saveexec_b64 s[54:55], s[54:55]
; %bb.354:                              ;   in Loop: Header=BB4_114 Depth=3
	v_cmp_gt_i16_sdwa vcc, sext(v54), v6 src0_sel:BYTE_0 src1_sel:DWORD
	v_cndmask_b32_e32 v16, v7, v10, vcc
	v_cmp_eq_u32_e32 vcc, 0, v17
	v_cndmask_b32_e32 v16, v11, v16, vcc
; %bb.355:                              ;   in Loop: Header=BB4_114 Depth=3
	s_or_b64 exec, exec, s[54:55]
.LBB4_356:                              ;   in Loop: Header=BB4_114 Depth=3
	s_or_b64 exec, exec, s[52:53]
.LBB4_357:                              ;   in Loop: Header=BB4_114 Depth=3
	s_or_b64 exec, exec, s[20:21]
	v_max_f32_e32 v16, v16, v16
	v_max_f32_e32 v2, v2, v2
	v_min_f32_e32 v24, v2, v16
.LBB4_358:                              ;   in Loop: Header=BB4_114 Depth=3
	s_or_b64 exec, exec, s[50:51]
	v_and_b32_sdwa v2, v24, s68 dst_sel:DWORD dst_unused:UNUSED_PAD src0_sel:BYTE_3 src1_sel:DWORD
	v_and_b32_e32 v36, 0x7f800000, v24
	v_mov_b32_e32 v37, v55
	v_and_b32_e32 v16, 0x7fffff, v24
	v_mov_b32_e32 v17, v55
	v_or_b32_e32 v22, 0x7b, v2
	v_cmp_ne_u64_e32 vcc, s[40:41], v[36:37]
	s_and_saveexec_b64 s[20:21], vcc
	s_xor_b64 s[50:51], exec, s[20:21]
	s_cbranch_execz .LBB4_368
; %bb.359:                              ;   in Loop: Header=BB4_114 Depth=3
	v_and_b32_e32 v36, 0x7fffffff, v24
	v_mov_b32_e32 v37, v55
	v_cmp_gt_u64_e32 vcc, s[42:43], v[36:37]
	s_and_saveexec_b64 s[52:53], vcc
	s_cbranch_execz .LBB4_367
; %bb.360:                              ;   in Loop: Header=BB4_114 Depth=3
	v_cmp_ne_u32_e32 vcc, 0, v24
	v_mov_b32_e32 v22, 0
	s_and_saveexec_b64 s[54:55], vcc
	s_cbranch_execz .LBB4_366
; %bb.361:                              ;   in Loop: Header=BB4_114 Depth=3
	v_bfe_u32 v19, v24, 23, 8
	v_sub_u32_e32 v24, 0x71, v19
	v_cmp_gt_u32_e32 vcc, s69, v19
	v_add_u32_e32 v22, 0xffffff81, v19
	v_cndmask_b32_e32 v24, 0, v24, vcc
	v_cmp_eq_u32_e32 vcc, 0, v19
	v_cndmask_b32_e32 v19, v22, v30, vcc
	v_cndmask_b32_e32 v22, v24, v48, vcc
	v_or_b32_e32 v25, 0x800000, v16
	v_add_u32_e32 v24, 21, v22
	v_cndmask_b32_e32 v16, v25, v16, vcc
	v_lshlrev_b64 v[24:25], v24, -1
	v_not_b32_e32 v24, v24
	v_and_b32_e32 v36, v16, v24
	v_add_u32_e32 v24, 20, v22
	v_lshrrev_b64 v[16:17], v22, v[16:17]
	v_not_b32_e32 v25, v25
	v_lshlrev_b64 v[50:51], v24, 1
	v_lshrrev_b32_e32 v24, 23, v16
	v_and_b32_e32 v37, 0, v25
	v_add3_u32 v24, v22, v19, v24
	v_bfe_u32 v19, v16, 21, 1
	v_add_u32_e32 v19, -1, v19
	v_cmp_eq_u64_e32 vcc, v[36:37], v[50:51]
	v_cndmask_b32_e32 v19, 0, v19, vcc
	v_add_u32_e32 v19, v19, v16
	v_and_b32_e32 v19, 0x1fffff, v19
	v_add_co_u32_e32 v16, vcc, v19, v16
	v_add_u32_e32 v22, 14, v24
	v_addc_co_u32_e32 v17, vcc, 0, v17, vcc
	v_cmp_ne_u32_e32 vcc, 0, v22
                                        ; implicit-def: $vgpr19
	s_and_saveexec_b64 s[20:21], vcc
	s_xor_b64 s[20:21], exec, s[20:21]
; %bb.362:                              ;   in Loop: Header=BB4_114 Depth=3
	v_add_u32_e32 v19, 15, v24
	v_cmp_lt_u64_e32 vcc, s[44:45], v[16:17]
	v_cndmask_b32_e32 v19, v22, v19, vcc
	v_cndmask_b32_e64 v22, 0, 1, vcc
	v_lshrrev_b64 v[16:17], v22, v[16:17]
; %bb.363:                              ;   in Loop: Header=BB4_114 Depth=3
	s_andn2_saveexec_b64 s[20:21], s[20:21]
; %bb.364:                              ;   in Loop: Header=BB4_114 Depth=3
	v_bfe_u32 v19, v16, 23, 1
; %bb.365:                              ;   in Loop: Header=BB4_114 Depth=3
	s_or_b64 exec, exec, s[20:21]
	v_lshrrev_b64 v[16:17], 21, v[16:17]
	v_cmp_gt_i32_e32 vcc, 32, v19
	v_cndmask_b32_e32 v17, 0, v17, vcc
	v_cndmask_b32_e32 v16, 3, v16, vcc
	v_cmp_eq_u64_e64 s[20:21], 0, v[16:17]
	v_min_i32_e32 v17, 31, v19
	v_cmp_eq_u32_e32 vcc, 0, v19
	v_lshlrev_b32_e32 v17, 2, v17
	v_and_or_b32 v16, v16, 3, v17
	s_and_b64 s[20:21], vcc, s[20:21]
	v_cndmask_b32_e64 v16, v16, 0, s[20:21]
	v_or_b32_e32 v22, v16, v2
.LBB4_366:                              ;   in Loop: Header=BB4_114 Depth=3
	s_or_b64 exec, exec, s[54:55]
.LBB4_367:                              ;   in Loop: Header=BB4_114 Depth=3
	s_or_b64 exec, exec, s[52:53]
                                        ; implicit-def: $vgpr24
                                        ; implicit-def: $vgpr16_vgpr17
.LBB4_368:                              ;   in Loop: Header=BB4_114 Depth=3
	s_andn2_saveexec_b64 s[20:21], s[50:51]
; %bb.369:                              ;   in Loop: Header=BB4_114 Depth=3
	v_or_b32_sdwa v2, v24, s70 dst_sel:DWORD dst_unused:UNUSED_PAD src0_sel:BYTE_3 src1_sel:DWORD
	v_cmp_eq_u64_e32 vcc, 0, v[16:17]
	v_cndmask_b32_e32 v22, v2, v22, vcc
; %bb.370:                              ;   in Loop: Header=BB4_114 Depth=3
	s_or_b64 exec, exec, s[20:21]
	v_lshrrev_b16_e32 v24, 8, v18
	v_lshrrev_b16_e32 v16, 8, v54
	v_cmp_ne_u16_e32 vcc, 0, v24
                                        ; implicit-def: $vgpr19
	s_and_saveexec_b64 s[20:21], s[14:15]
	s_xor_b64 s[50:51], exec, s[20:21]
	s_cbranch_execz .LBB4_388
; %bb.371:                              ;   in Loop: Header=BB4_114 Depth=3
	v_mov_b32_e32 v17, 0
	v_mov_b32_e32 v2, 0
	s_and_saveexec_b64 s[52:53], vcc
	s_cbranch_execz .LBB4_379
; %bb.372:                              ;   in Loop: Header=BB4_114 Depth=3
	v_cmp_ne_u16_e64 s[20:21], s68, v24
	v_bfrev_b32_e32 v2, 1
	s_and_saveexec_b64 s[54:55], s[20:21]
	s_cbranch_execz .LBB4_378
; %bb.373:                              ;   in Loop: Header=BB4_114 Depth=3
	v_and_b32_e32 v2, 0x7c, v24
	v_and_b32_e32 v19, 3, v24
	v_cmp_ne_u32_e64 s[20:21], s66, v2
                                        ; implicit-def: $vgpr2
	s_and_saveexec_b64 s[56:57], s[20:21]
	s_xor_b64 s[56:57], exec, s[56:57]
	s_cbranch_execz .LBB4_375
; %bb.374:                              ;   in Loop: Header=BB4_114 Depth=3
	v_ffbh_u32_e32 v36, v19
	v_min_u32_e32 v36, 32, v36
	v_mov_b32_e32 v25, v55
	v_subrev_u32_e32 v37, 29, v36
	v_bfe_u32 v2, v24, 2, 5
	v_lshlrev_b64 v[24:25], v37, v[24:25]
	v_sub_u32_e32 v25, 30, v36
	v_cmp_eq_u32_e64 s[20:21], 0, v2
	v_and_b32_e32 v24, 3, v24
	v_cndmask_b32_e64 v2, v2, v25, s[20:21]
	v_cndmask_b32_e64 v19, v19, v24, s[20:21]
	v_lshlrev_b32_e32 v24, 16, v18
	v_lshl_add_u32 v2, v2, 23, v47
	v_and_or_b32 v2, v24, s67, v2
	v_lshl_or_b32 v2, v19, 21, v2
                                        ; implicit-def: $vgpr19
.LBB4_375:                              ;   in Loop: Header=BB4_114 Depth=3
	s_andn2_saveexec_b64 s[56:57], s[56:57]
; %bb.376:                              ;   in Loop: Header=BB4_114 Depth=3
	v_cmp_lt_i16_e64 s[20:21], -1, v18
	v_cndmask_b32_e64 v2, v7, v10, s[20:21]
	v_cmp_eq_u32_e64 s[20:21], 0, v19
	v_cndmask_b32_e64 v2, v11, v2, s[20:21]
; %bb.377:                              ;   in Loop: Header=BB4_114 Depth=3
	s_or_b64 exec, exec, s[56:57]
.LBB4_378:                              ;   in Loop: Header=BB4_114 Depth=3
	s_or_b64 exec, exec, s[54:55]
.LBB4_379:                              ;   in Loop: Header=BB4_114 Depth=3
	s_or_b64 exec, exec, s[52:53]
	v_cmp_ne_u16_e64 s[20:21], 0, v16
	s_and_saveexec_b64 s[52:53], s[20:21]
	s_cbranch_execz .LBB4_387
; %bb.380:                              ;   in Loop: Header=BB4_114 Depth=3
	v_cmp_ne_u16_e64 s[20:21], s68, v16
	v_bfrev_b32_e32 v17, 1
	s_and_saveexec_b64 s[54:55], s[20:21]
	s_cbranch_execz .LBB4_386
; %bb.381:                              ;   in Loop: Header=BB4_114 Depth=3
	v_and_b32_e32 v17, 0x7c, v16
	v_and_b32_e32 v19, 3, v16
	v_cmp_ne_u32_e64 s[20:21], s66, v17
                                        ; implicit-def: $vgpr17
	s_and_saveexec_b64 s[56:57], s[20:21]
	s_xor_b64 s[56:57], exec, s[56:57]
	s_cbranch_execz .LBB4_383
; %bb.382:                              ;   in Loop: Header=BB4_114 Depth=3
	v_ffbh_u32_e32 v25, v19
	v_min_u32_e32 v25, 32, v25
	v_mov_b32_e32 v17, v55
	v_subrev_u32_e32 v36, 29, v25
	v_bfe_u32 v24, v16, 2, 5
	v_lshlrev_b64 v[16:17], v36, v[16:17]
	v_sub_u32_e32 v17, 30, v25
	v_cmp_eq_u32_e64 s[20:21], 0, v24
	v_and_b32_e32 v16, 3, v16
	v_cndmask_b32_e64 v17, v24, v17, s[20:21]
	v_cndmask_b32_e64 v16, v19, v16, s[20:21]
	v_lshlrev_b32_e32 v19, 16, v54
	v_lshl_add_u32 v17, v17, 23, v47
	v_and_or_b32 v17, v19, s67, v17
	v_lshl_or_b32 v17, v16, 21, v17
                                        ; implicit-def: $vgpr19
.LBB4_383:                              ;   in Loop: Header=BB4_114 Depth=3
	s_andn2_saveexec_b64 s[56:57], s[56:57]
; %bb.384:                              ;   in Loop: Header=BB4_114 Depth=3
	v_cmp_lt_i16_e64 s[20:21], -1, v54
	v_cndmask_b32_e64 v16, v7, v10, s[20:21]
	v_cmp_eq_u32_e64 s[20:21], 0, v19
	v_cndmask_b32_e64 v17, v11, v16, s[20:21]
; %bb.385:                              ;   in Loop: Header=BB4_114 Depth=3
	s_or_b64 exec, exec, s[56:57]
.LBB4_386:                              ;   in Loop: Header=BB4_114 Depth=3
	s_or_b64 exec, exec, s[54:55]
.LBB4_387:                              ;   in Loop: Header=BB4_114 Depth=3
	s_or_b64 exec, exec, s[52:53]
	v_max_f32_e32 v16, v17, v17
	v_max_f32_e32 v2, v2, v2
	;; [unrolled: 1-line block ×3, first 2 shown]
                                        ; implicit-def: $vgpr16
                                        ; implicit-def: $vgpr24
.LBB4_388:                              ;   in Loop: Header=BB4_114 Depth=3
	s_andn2_saveexec_b64 s[20:21], s[50:51]
	s_cbranch_execz .LBB4_406
; %bb.389:                              ;   in Loop: Header=BB4_114 Depth=3
	v_mov_b32_e32 v17, 0
	v_mov_b32_e32 v2, 0
	s_and_saveexec_b64 s[50:51], vcc
	s_cbranch_execz .LBB4_397
; %bb.390:                              ;   in Loop: Header=BB4_114 Depth=3
	v_cmp_ne_u16_e32 vcc, s68, v24
	v_bfrev_b32_e32 v2, 1
	s_and_saveexec_b64 s[52:53], vcc
	s_cbranch_execz .LBB4_396
; %bb.391:                              ;   in Loop: Header=BB4_114 Depth=3
	v_and_b32_e32 v2, 0x7c, v24
	v_and_b32_e32 v19, 3, v24
	v_cmp_ne_u32_e32 vcc, s66, v2
                                        ; implicit-def: $vgpr2
	s_and_saveexec_b64 s[54:55], vcc
	s_xor_b64 s[54:55], exec, s[54:55]
	s_cbranch_execz .LBB4_393
; %bb.392:                              ;   in Loop: Header=BB4_114 Depth=3
	v_ffbh_u32_e32 v36, v19
	v_min_u32_e32 v36, 32, v36
	v_mov_b32_e32 v25, v55
	v_subrev_u32_e32 v37, 29, v36
	v_bfe_u32 v2, v24, 2, 5
	v_lshlrev_b64 v[24:25], v37, v[24:25]
	v_sub_u32_e32 v25, 30, v36
	v_cmp_eq_u32_e32 vcc, 0, v2
	v_and_b32_e32 v24, 3, v24
	v_cndmask_b32_e32 v2, v2, v25, vcc
	v_cndmask_b32_e32 v19, v19, v24, vcc
	v_lshlrev_b32_e32 v24, 16, v18
	v_lshl_add_u32 v2, v2, 23, v47
	v_and_or_b32 v2, v24, s67, v2
	v_lshl_or_b32 v2, v19, 21, v2
                                        ; implicit-def: $vgpr19
.LBB4_393:                              ;   in Loop: Header=BB4_114 Depth=3
	s_andn2_saveexec_b64 s[54:55], s[54:55]
; %bb.394:                              ;   in Loop: Header=BB4_114 Depth=3
	v_cmp_lt_i16_e32 vcc, -1, v18
	v_cndmask_b32_e32 v2, v7, v10, vcc
	v_cmp_eq_u32_e32 vcc, 0, v19
	v_cndmask_b32_e32 v2, v11, v2, vcc
; %bb.395:                              ;   in Loop: Header=BB4_114 Depth=3
	s_or_b64 exec, exec, s[54:55]
.LBB4_396:                              ;   in Loop: Header=BB4_114 Depth=3
	s_or_b64 exec, exec, s[52:53]
.LBB4_397:                              ;   in Loop: Header=BB4_114 Depth=3
	s_or_b64 exec, exec, s[50:51]
	v_cmp_ne_u16_e32 vcc, 0, v16
	s_and_saveexec_b64 s[50:51], vcc
	s_cbranch_execz .LBB4_405
; %bb.398:                              ;   in Loop: Header=BB4_114 Depth=3
	v_cmp_ne_u16_e32 vcc, s68, v16
	v_bfrev_b32_e32 v17, 1
	s_and_saveexec_b64 s[52:53], vcc
	s_cbranch_execz .LBB4_404
; %bb.399:                              ;   in Loop: Header=BB4_114 Depth=3
	v_and_b32_e32 v17, 0x7c, v16
	v_and_b32_e32 v19, 3, v16
	v_cmp_ne_u32_e32 vcc, s66, v17
                                        ; implicit-def: $vgpr17
	s_and_saveexec_b64 s[54:55], vcc
	s_xor_b64 s[54:55], exec, s[54:55]
	s_cbranch_execz .LBB4_401
; %bb.400:                              ;   in Loop: Header=BB4_114 Depth=3
	v_ffbh_u32_e32 v25, v19
	v_min_u32_e32 v25, 32, v25
	v_mov_b32_e32 v17, v55
	v_subrev_u32_e32 v36, 29, v25
	v_bfe_u32 v24, v16, 2, 5
	v_lshlrev_b64 v[16:17], v36, v[16:17]
	v_sub_u32_e32 v17, 30, v25
	v_cmp_eq_u32_e32 vcc, 0, v24
	v_and_b32_e32 v16, 3, v16
	v_cndmask_b32_e32 v17, v24, v17, vcc
	v_cndmask_b32_e32 v16, v19, v16, vcc
	v_lshlrev_b32_e32 v19, 16, v54
	v_lshl_add_u32 v17, v17, 23, v47
	v_and_or_b32 v17, v19, s67, v17
	v_lshl_or_b32 v17, v16, 21, v17
                                        ; implicit-def: $vgpr19
.LBB4_401:                              ;   in Loop: Header=BB4_114 Depth=3
	s_andn2_saveexec_b64 s[54:55], s[54:55]
; %bb.402:                              ;   in Loop: Header=BB4_114 Depth=3
	v_cmp_lt_i16_e32 vcc, -1, v54
	v_cndmask_b32_e32 v16, v7, v10, vcc
	v_cmp_eq_u32_e32 vcc, 0, v19
	v_cndmask_b32_e32 v17, v11, v16, vcc
; %bb.403:                              ;   in Loop: Header=BB4_114 Depth=3
	s_or_b64 exec, exec, s[54:55]
.LBB4_404:                              ;   in Loop: Header=BB4_114 Depth=3
	s_or_b64 exec, exec, s[52:53]
.LBB4_405:                              ;   in Loop: Header=BB4_114 Depth=3
	s_or_b64 exec, exec, s[50:51]
	v_max_f32_e32 v16, v17, v17
	v_max_f32_e32 v2, v2, v2
	v_min_f32_e32 v19, v2, v16
.LBB4_406:                              ;   in Loop: Header=BB4_114 Depth=3
	s_or_b64 exec, exec, s[20:21]
	v_and_b32_sdwa v2, v19, s68 dst_sel:DWORD dst_unused:UNUSED_PAD src0_sel:BYTE_3 src1_sel:DWORD
	v_and_b32_e32 v36, 0x7f800000, v19
	v_mov_b32_e32 v37, v55
	v_and_b32_e32 v16, 0x7fffff, v19
	v_mov_b32_e32 v17, v55
	v_or_b32_e32 v25, 0x7b, v2
	v_cmp_ne_u64_e32 vcc, s[40:41], v[36:37]
	s_and_saveexec_b64 s[20:21], vcc
	s_xor_b64 s[50:51], exec, s[20:21]
	s_cbranch_execz .LBB4_416
; %bb.407:                              ;   in Loop: Header=BB4_114 Depth=3
	v_and_b32_e32 v36, 0x7fffffff, v19
	v_mov_b32_e32 v37, v55
	v_cmp_gt_u64_e32 vcc, s[42:43], v[36:37]
	s_and_saveexec_b64 s[52:53], vcc
	s_cbranch_execz .LBB4_415
; %bb.408:                              ;   in Loop: Header=BB4_114 Depth=3
	v_cmp_ne_u32_e32 vcc, 0, v19
	v_mov_b32_e32 v25, 0
	s_and_saveexec_b64 s[54:55], vcc
	s_cbranch_execz .LBB4_414
; %bb.409:                              ;   in Loop: Header=BB4_114 Depth=3
	v_bfe_u32 v19, v19, 23, 8
	v_sub_u32_e32 v25, 0x71, v19
	v_cmp_gt_u32_e32 vcc, s69, v19
	v_cndmask_b32_e32 v25, 0, v25, vcc
	v_cmp_eq_u32_e32 vcc, 0, v19
	v_add_u32_e32 v24, 0xffffff81, v19
	v_cndmask_b32_e32 v40, v25, v48, vcc
	v_cndmask_b32_e32 v19, v24, v30, vcc
	v_add_u32_e32 v24, 21, v40
	v_or_b32_e32 v36, 0x800000, v16
	v_lshlrev_b64 v[24:25], v24, -1
	v_cndmask_b32_e32 v16, v36, v16, vcc
	v_not_b32_e32 v24, v24
	v_and_b32_e32 v36, v16, v24
	v_add_u32_e32 v24, 20, v40
	v_lshrrev_b64 v[16:17], v40, v[16:17]
	v_not_b32_e32 v25, v25
	v_lshlrev_b64 v[50:51], v24, 1
	v_lshrrev_b32_e32 v24, 23, v16
	v_and_b32_e32 v37, 0, v25
	v_add3_u32 v25, v40, v19, v24
	v_bfe_u32 v19, v16, 21, 1
	v_add_u32_e32 v19, -1, v19
	v_cmp_eq_u64_e32 vcc, v[36:37], v[50:51]
	v_cndmask_b32_e32 v19, 0, v19, vcc
	v_add_u32_e32 v19, v19, v16
	v_and_b32_e32 v19, 0x1fffff, v19
	v_add_co_u32_e32 v16, vcc, v19, v16
	v_add_u32_e32 v24, 14, v25
	v_addc_co_u32_e32 v17, vcc, 0, v17, vcc
	v_cmp_ne_u32_e32 vcc, 0, v24
                                        ; implicit-def: $vgpr19
	s_and_saveexec_b64 s[20:21], vcc
	s_xor_b64 s[20:21], exec, s[20:21]
; %bb.410:                              ;   in Loop: Header=BB4_114 Depth=3
	v_add_u32_e32 v19, 15, v25
	v_cmp_lt_u64_e32 vcc, s[44:45], v[16:17]
	v_cndmask_b32_e32 v19, v24, v19, vcc
	v_cndmask_b32_e64 v24, 0, 1, vcc
	v_lshrrev_b64 v[16:17], v24, v[16:17]
; %bb.411:                              ;   in Loop: Header=BB4_114 Depth=3
	s_andn2_saveexec_b64 s[20:21], s[20:21]
; %bb.412:                              ;   in Loop: Header=BB4_114 Depth=3
	v_bfe_u32 v19, v16, 23, 1
; %bb.413:                              ;   in Loop: Header=BB4_114 Depth=3
	s_or_b64 exec, exec, s[20:21]
	v_lshrrev_b64 v[16:17], 21, v[16:17]
	v_cmp_gt_i32_e32 vcc, 32, v19
	v_cndmask_b32_e32 v17, 0, v17, vcc
	v_cndmask_b32_e32 v16, 3, v16, vcc
	v_cmp_eq_u64_e64 s[20:21], 0, v[16:17]
	v_min_i32_e32 v17, 31, v19
	v_cmp_eq_u32_e32 vcc, 0, v19
	v_lshlrev_b32_e32 v17, 2, v17
	v_and_or_b32 v16, v16, 3, v17
	s_and_b64 s[20:21], vcc, s[20:21]
	v_cndmask_b32_e64 v16, v16, 0, s[20:21]
	v_or_b32_e32 v25, v16, v2
.LBB4_414:                              ;   in Loop: Header=BB4_114 Depth=3
	s_or_b64 exec, exec, s[54:55]
.LBB4_415:                              ;   in Loop: Header=BB4_114 Depth=3
	s_or_b64 exec, exec, s[52:53]
                                        ; implicit-def: $vgpr19
                                        ; implicit-def: $vgpr16_vgpr17
.LBB4_416:                              ;   in Loop: Header=BB4_114 Depth=3
	s_andn2_saveexec_b64 s[20:21], s[50:51]
; %bb.417:                              ;   in Loop: Header=BB4_114 Depth=3
	v_or_b32_sdwa v2, v19, s70 dst_sel:DWORD dst_unused:UNUSED_PAD src0_sel:BYTE_3 src1_sel:DWORD
	v_cmp_eq_u64_e32 vcc, 0, v[16:17]
	v_cndmask_b32_e32 v25, v2, v25, vcc
; %bb.418:                              ;   in Loop: Header=BB4_114 Depth=3
	s_or_b64 exec, exec, s[20:21]
	v_lshrrev_b32_e32 v16, 16, v18
	v_lshrrev_b32_e32 v2, 16, v54
	v_cmp_ne_u16_sdwa s[20:21], v16, v55 src0_sel:BYTE_0 src1_sel:DWORD
                                        ; implicit-def: $vgpr19
	s_and_saveexec_b64 vcc, s[14:15]
	s_xor_b64 s[50:51], exec, vcc
	s_cbranch_execz .LBB4_436
; %bb.419:                              ;   in Loop: Header=BB4_114 Depth=3
	v_mov_b32_e32 v19, 0
	v_mov_b32_e32 v17, 0
	s_and_saveexec_b64 s[52:53], s[20:21]
	s_cbranch_execz .LBB4_427
; %bb.420:                              ;   in Loop: Header=BB4_114 Depth=3
	v_cmp_ne_u16_sdwa vcc, v16, s68 src0_sel:BYTE_0 src1_sel:DWORD
	v_bfrev_b32_e32 v17, 1
	s_and_saveexec_b64 s[54:55], vcc
	s_cbranch_execz .LBB4_426
; %bb.421:                              ;   in Loop: Header=BB4_114 Depth=3
	v_and_b32_e32 v17, 0x7c0000, v18
	v_bfe_u32 v24, v18, 16, 2
	v_cmp_ne_u32_e32 vcc, s71, v17
                                        ; implicit-def: $vgpr17
	s_and_saveexec_b64 s[56:57], vcc
	s_xor_b64 s[56:57], exec, s[56:57]
	s_cbranch_execz .LBB4_423
; %bb.422:                              ;   in Loop: Header=BB4_114 Depth=3
	v_ffbh_u32_e32 v36, v24
	v_min_u32_e32 v50, 32, v36
	v_bfe_u32 v17, v18, 18, 5
	v_subrev_u32_e32 v36, 29, v50
	v_lshlrev_b64 v[36:37], v36, v[16:17]
	v_sub_u32_e32 v37, 30, v50
	v_cmp_eq_u32_e32 vcc, 0, v17
	v_cndmask_b32_e32 v17, v17, v37, vcc
	v_and_b32_e32 v36, 3, v36
	v_lshlrev_b32_e32 v16, 24, v16
	v_lshl_add_u32 v17, v17, 23, v47
	v_cndmask_b32_e32 v24, v24, v36, vcc
	v_and_or_b32 v16, v16, s67, v17
	v_lshl_or_b32 v17, v24, 21, v16
                                        ; implicit-def: $vgpr24
                                        ; implicit-def: $vgpr16
.LBB4_423:                              ;   in Loop: Header=BB4_114 Depth=3
	s_andn2_saveexec_b64 s[56:57], s[56:57]
; %bb.424:                              ;   in Loop: Header=BB4_114 Depth=3
	v_cmp_gt_i16_sdwa vcc, sext(v16), v6 src0_sel:BYTE_0 src1_sel:DWORD
	v_cndmask_b32_e32 v16, v7, v10, vcc
	v_cmp_eq_u32_e32 vcc, 0, v24
	v_cndmask_b32_e32 v17, v11, v16, vcc
; %bb.425:                              ;   in Loop: Header=BB4_114 Depth=3
	s_or_b64 exec, exec, s[56:57]
.LBB4_426:                              ;   in Loop: Header=BB4_114 Depth=3
	s_or_b64 exec, exec, s[54:55]
.LBB4_427:                              ;   in Loop: Header=BB4_114 Depth=3
	s_or_b64 exec, exec, s[52:53]
	v_and_b32_sdwa v16, v54, s64 dst_sel:DWORD dst_unused:UNUSED_PAD src0_sel:WORD_1 src1_sel:DWORD
	v_cmp_ne_u16_e32 vcc, 0, v16
	s_and_saveexec_b64 s[52:53], vcc
	s_cbranch_execz .LBB4_435
; %bb.428:                              ;   in Loop: Header=BB4_114 Depth=3
	v_cmp_ne_u16_e32 vcc, s68, v16
	v_bfrev_b32_e32 v19, 1
	s_and_saveexec_b64 s[54:55], vcc
	s_cbranch_execz .LBB4_434
; %bb.429:                              ;   in Loop: Header=BB4_114 Depth=3
	v_and_b32_e32 v19, 0x7c0000, v54
	v_bfe_u32 v16, v54, 16, 2
	v_cmp_ne_u32_e32 vcc, s71, v19
                                        ; implicit-def: $vgpr19
	s_and_saveexec_b64 s[56:57], vcc
	s_xor_b64 s[56:57], exec, s[56:57]
	s_cbranch_execz .LBB4_431
; %bb.430:                              ;   in Loop: Header=BB4_114 Depth=3
	v_ffbh_u32_e32 v24, v16
	v_bfe_u32 v19, v54, 18, 5
	v_min_u32_e32 v24, 32, v24
	v_subrev_u32_e32 v36, 29, v24
	v_sub_u32_e32 v24, 30, v24
	v_cmp_eq_u32_e32 vcc, 0, v19
	v_lshlrev_b64 v[36:37], v36, v[2:3]
	v_cndmask_b32_e32 v19, v19, v24, vcc
	v_and_b32_e32 v36, 3, v36
	v_lshlrev_b32_e32 v2, 24, v2
	v_lshl_add_u32 v19, v19, 23, v47
	v_cndmask_b32_e32 v16, v16, v36, vcc
	v_and_or_b32 v2, v2, s67, v19
	v_lshl_or_b32 v19, v16, 21, v2
                                        ; implicit-def: $vgpr16
                                        ; implicit-def: $vgpr2
.LBB4_431:                              ;   in Loop: Header=BB4_114 Depth=3
	s_andn2_saveexec_b64 s[56:57], s[56:57]
; %bb.432:                              ;   in Loop: Header=BB4_114 Depth=3
	v_cmp_gt_i16_sdwa vcc, sext(v2), v6 src0_sel:BYTE_0 src1_sel:DWORD
	v_cndmask_b32_e32 v2, v7, v10, vcc
	v_cmp_eq_u32_e32 vcc, 0, v16
	v_cndmask_b32_e32 v19, v11, v2, vcc
; %bb.433:                              ;   in Loop: Header=BB4_114 Depth=3
	s_or_b64 exec, exec, s[56:57]
.LBB4_434:                              ;   in Loop: Header=BB4_114 Depth=3
	s_or_b64 exec, exec, s[54:55]
.LBB4_435:                              ;   in Loop: Header=BB4_114 Depth=3
	s_or_b64 exec, exec, s[52:53]
	v_max_f32_e32 v2, v19, v19
	v_max_f32_e32 v16, v17, v17
	;; [unrolled: 1-line block ×3, first 2 shown]
                                        ; implicit-def: $vgpr16
                                        ; implicit-def: $vgpr2
.LBB4_436:                              ;   in Loop: Header=BB4_114 Depth=3
	s_andn2_saveexec_b64 s[50:51], s[50:51]
	s_cbranch_execz .LBB4_454
; %bb.437:                              ;   in Loop: Header=BB4_114 Depth=3
	v_mov_b32_e32 v19, 0
	v_mov_b32_e32 v17, 0
	s_and_saveexec_b64 s[52:53], s[20:21]
	s_cbranch_execz .LBB4_445
; %bb.438:                              ;   in Loop: Header=BB4_114 Depth=3
	v_cmp_ne_u16_sdwa vcc, v16, s68 src0_sel:BYTE_0 src1_sel:DWORD
	v_bfrev_b32_e32 v17, 1
	s_and_saveexec_b64 s[20:21], vcc
	s_cbranch_execz .LBB4_444
; %bb.439:                              ;   in Loop: Header=BB4_114 Depth=3
	v_and_b32_e32 v17, 0x7c0000, v18
	v_bfe_u32 v24, v18, 16, 2
	v_cmp_ne_u32_e32 vcc, s71, v17
                                        ; implicit-def: $vgpr17
	s_and_saveexec_b64 s[54:55], vcc
	s_xor_b64 s[54:55], exec, s[54:55]
	s_cbranch_execz .LBB4_441
; %bb.440:                              ;   in Loop: Header=BB4_114 Depth=3
	v_ffbh_u32_e32 v36, v24
	v_min_u32_e32 v50, 32, v36
	v_bfe_u32 v17, v18, 18, 5
	v_subrev_u32_e32 v36, 29, v50
	v_lshlrev_b64 v[36:37], v36, v[16:17]
	v_sub_u32_e32 v37, 30, v50
	v_cmp_eq_u32_e32 vcc, 0, v17
	v_cndmask_b32_e32 v17, v17, v37, vcc
	v_and_b32_e32 v36, 3, v36
	v_lshlrev_b32_e32 v16, 24, v16
	v_lshl_add_u32 v17, v17, 23, v47
	v_cndmask_b32_e32 v24, v24, v36, vcc
	v_and_or_b32 v16, v16, s67, v17
	v_lshl_or_b32 v17, v24, 21, v16
                                        ; implicit-def: $vgpr24
                                        ; implicit-def: $vgpr16
.LBB4_441:                              ;   in Loop: Header=BB4_114 Depth=3
	s_andn2_saveexec_b64 s[54:55], s[54:55]
; %bb.442:                              ;   in Loop: Header=BB4_114 Depth=3
	v_cmp_gt_i16_sdwa vcc, sext(v16), v6 src0_sel:BYTE_0 src1_sel:DWORD
	v_cndmask_b32_e32 v16, v7, v10, vcc
	v_cmp_eq_u32_e32 vcc, 0, v24
	v_cndmask_b32_e32 v17, v11, v16, vcc
; %bb.443:                              ;   in Loop: Header=BB4_114 Depth=3
	s_or_b64 exec, exec, s[54:55]
.LBB4_444:                              ;   in Loop: Header=BB4_114 Depth=3
	s_or_b64 exec, exec, s[20:21]
.LBB4_445:                              ;   in Loop: Header=BB4_114 Depth=3
	s_or_b64 exec, exec, s[52:53]
	v_and_b32_sdwa v16, v54, s64 dst_sel:DWORD dst_unused:UNUSED_PAD src0_sel:WORD_1 src1_sel:DWORD
	v_cmp_ne_u16_e32 vcc, 0, v16
	s_and_saveexec_b64 s[20:21], vcc
	s_cbranch_execz .LBB4_453
; %bb.446:                              ;   in Loop: Header=BB4_114 Depth=3
	v_cmp_ne_u16_e32 vcc, s68, v16
	v_bfrev_b32_e32 v19, 1
	s_and_saveexec_b64 s[52:53], vcc
	s_cbranch_execz .LBB4_452
; %bb.447:                              ;   in Loop: Header=BB4_114 Depth=3
	v_and_b32_e32 v19, 0x7c0000, v54
	v_bfe_u32 v16, v54, 16, 2
	v_cmp_ne_u32_e32 vcc, s71, v19
                                        ; implicit-def: $vgpr19
	s_and_saveexec_b64 s[54:55], vcc
	s_xor_b64 s[54:55], exec, s[54:55]
	s_cbranch_execz .LBB4_449
; %bb.448:                              ;   in Loop: Header=BB4_114 Depth=3
	v_ffbh_u32_e32 v24, v16
	v_bfe_u32 v19, v54, 18, 5
	v_min_u32_e32 v24, 32, v24
	v_subrev_u32_e32 v36, 29, v24
	v_sub_u32_e32 v24, 30, v24
	v_cmp_eq_u32_e32 vcc, 0, v19
	v_lshlrev_b64 v[36:37], v36, v[2:3]
	v_cndmask_b32_e32 v19, v19, v24, vcc
	v_and_b32_e32 v36, 3, v36
	v_lshlrev_b32_e32 v2, 24, v2
	v_lshl_add_u32 v19, v19, 23, v47
	v_cndmask_b32_e32 v16, v16, v36, vcc
	v_and_or_b32 v2, v2, s67, v19
	v_lshl_or_b32 v19, v16, 21, v2
                                        ; implicit-def: $vgpr16
                                        ; implicit-def: $vgpr2
.LBB4_449:                              ;   in Loop: Header=BB4_114 Depth=3
	s_andn2_saveexec_b64 s[54:55], s[54:55]
; %bb.450:                              ;   in Loop: Header=BB4_114 Depth=3
	v_cmp_gt_i16_sdwa vcc, sext(v2), v6 src0_sel:BYTE_0 src1_sel:DWORD
	v_cndmask_b32_e32 v2, v7, v10, vcc
	v_cmp_eq_u32_e32 vcc, 0, v16
	v_cndmask_b32_e32 v19, v11, v2, vcc
; %bb.451:                              ;   in Loop: Header=BB4_114 Depth=3
	s_or_b64 exec, exec, s[54:55]
.LBB4_452:                              ;   in Loop: Header=BB4_114 Depth=3
	s_or_b64 exec, exec, s[52:53]
.LBB4_453:                              ;   in Loop: Header=BB4_114 Depth=3
	s_or_b64 exec, exec, s[20:21]
	v_max_f32_e32 v2, v19, v19
	v_max_f32_e32 v16, v17, v17
	v_min_f32_e32 v19, v16, v2
.LBB4_454:                              ;   in Loop: Header=BB4_114 Depth=3
	s_or_b64 exec, exec, s[50:51]
	v_and_b32_sdwa v2, v19, s68 dst_sel:DWORD dst_unused:UNUSED_PAD src0_sel:BYTE_3 src1_sel:DWORD
	v_and_b32_e32 v50, 0x7f800000, v19
	v_mov_b32_e32 v51, v55
	v_and_b32_e32 v16, 0x7fffff, v19
	v_mov_b32_e32 v17, v55
	v_or_b32_e32 v36, 0x7b, v2
	v_cmp_ne_u64_e32 vcc, s[40:41], v[50:51]
	s_and_saveexec_b64 s[20:21], vcc
	s_xor_b64 s[50:51], exec, s[20:21]
	s_cbranch_execz .LBB4_464
; %bb.455:                              ;   in Loop: Header=BB4_114 Depth=3
	v_and_b32_e32 v50, 0x7fffffff, v19
	v_mov_b32_e32 v51, v55
	v_cmp_gt_u64_e32 vcc, s[42:43], v[50:51]
	s_and_saveexec_b64 s[52:53], vcc
	s_cbranch_execz .LBB4_463
; %bb.456:                              ;   in Loop: Header=BB4_114 Depth=3
	v_cmp_ne_u32_e32 vcc, 0, v19
	v_mov_b32_e32 v36, 0
	s_and_saveexec_b64 s[54:55], vcc
	s_cbranch_execz .LBB4_462
; %bb.457:                              ;   in Loop: Header=BB4_114 Depth=3
	v_bfe_u32 v19, v19, 23, 8
	v_sub_u32_e32 v36, 0x71, v19
	v_cmp_gt_u32_e32 vcc, s69, v19
	v_add_u32_e32 v24, 0xffffff81, v19
	v_cndmask_b32_e32 v36, 0, v36, vcc
	v_cmp_eq_u32_e32 vcc, 0, v19
	v_cndmask_b32_e32 v19, v24, v30, vcc
	v_cndmask_b32_e32 v24, v36, v48, vcc
	v_or_b32_e32 v37, 0x800000, v16
	v_add_u32_e32 v36, 21, v24
	v_cndmask_b32_e32 v16, v37, v16, vcc
	v_lshlrev_b64 v[36:37], v36, -1
	v_not_b32_e32 v36, v36
	v_and_b32_e32 v50, v16, v36
	v_add_u32_e32 v36, 20, v24
	v_lshrrev_b64 v[16:17], v24, v[16:17]
	v_not_b32_e32 v37, v37
	v_lshlrev_b64 v[40:41], v36, 1
	v_lshrrev_b32_e32 v36, 23, v16
	v_and_b32_e32 v51, 0, v37
	v_add3_u32 v36, v24, v19, v36
	v_bfe_u32 v19, v16, 21, 1
	v_add_u32_e32 v19, -1, v19
	v_cmp_eq_u64_e32 vcc, v[50:51], v[40:41]
	v_cndmask_b32_e32 v19, 0, v19, vcc
	v_add_u32_e32 v19, v19, v16
	v_and_b32_e32 v19, 0x1fffff, v19
	v_add_co_u32_e32 v16, vcc, v19, v16
	v_add_u32_e32 v24, 14, v36
	v_addc_co_u32_e32 v17, vcc, 0, v17, vcc
	v_cmp_ne_u32_e32 vcc, 0, v24
                                        ; implicit-def: $vgpr19
	s_and_saveexec_b64 s[20:21], vcc
	s_xor_b64 s[20:21], exec, s[20:21]
; %bb.458:                              ;   in Loop: Header=BB4_114 Depth=3
	v_add_u32_e32 v19, 15, v36
	v_cmp_lt_u64_e32 vcc, s[44:45], v[16:17]
	v_cndmask_b32_e32 v19, v24, v19, vcc
	v_cndmask_b32_e64 v24, 0, 1, vcc
	v_lshrrev_b64 v[16:17], v24, v[16:17]
; %bb.459:                              ;   in Loop: Header=BB4_114 Depth=3
	s_andn2_saveexec_b64 s[20:21], s[20:21]
; %bb.460:                              ;   in Loop: Header=BB4_114 Depth=3
	v_bfe_u32 v19, v16, 23, 1
; %bb.461:                              ;   in Loop: Header=BB4_114 Depth=3
	s_or_b64 exec, exec, s[20:21]
	v_lshrrev_b64 v[16:17], 21, v[16:17]
	v_cmp_gt_i32_e32 vcc, 32, v19
	v_cndmask_b32_e32 v17, 0, v17, vcc
	v_cndmask_b32_e32 v16, 3, v16, vcc
	v_cmp_eq_u64_e64 s[20:21], 0, v[16:17]
	v_min_i32_e32 v17, 31, v19
	v_cmp_eq_u32_e32 vcc, 0, v19
	v_lshlrev_b32_e32 v17, 2, v17
	v_and_or_b32 v16, v16, 3, v17
	s_and_b64 s[20:21], vcc, s[20:21]
	v_cndmask_b32_e64 v16, v16, 0, s[20:21]
	v_or_b32_e32 v36, v16, v2
.LBB4_462:                              ;   in Loop: Header=BB4_114 Depth=3
	s_or_b64 exec, exec, s[54:55]
.LBB4_463:                              ;   in Loop: Header=BB4_114 Depth=3
	s_or_b64 exec, exec, s[52:53]
                                        ; implicit-def: $vgpr19
                                        ; implicit-def: $vgpr16_vgpr17
.LBB4_464:                              ;   in Loop: Header=BB4_114 Depth=3
	s_andn2_saveexec_b64 s[20:21], s[50:51]
; %bb.465:                              ;   in Loop: Header=BB4_114 Depth=3
	v_or_b32_sdwa v2, v19, s70 dst_sel:DWORD dst_unused:UNUSED_PAD src0_sel:BYTE_3 src1_sel:DWORD
	v_cmp_eq_u64_e32 vcc, 0, v[16:17]
	v_cndmask_b32_e32 v36, v2, v36, vcc
; %bb.466:                              ;   in Loop: Header=BB4_114 Depth=3
	s_or_b64 exec, exec, s[20:21]
	v_mov_b32_e32 v40, v55
	v_mov_b32_e32 v41, v18
	v_lshrrev_b32_e32 v24, 24, v18
	v_lshrrev_b32_e32 v2, 24, v54
	v_mov_b32_e32 v16, v55
	v_mov_b32_e32 v17, v54
	v_cmp_lt_u64_e32 vcc, s[38:39], v[40:41]
                                        ; implicit-def: $vgpr37
	s_and_saveexec_b64 s[20:21], s[14:15]
	s_xor_b64 s[50:51], exec, s[20:21]
	s_cbranch_execz .LBB4_484
; %bb.467:                              ;   in Loop: Header=BB4_114 Depth=3
	v_mov_b32_e32 v37, 0
	v_mov_b32_e32 v19, 0
	s_and_saveexec_b64 s[52:53], vcc
	s_cbranch_execz .LBB4_475
; %bb.468:                              ;   in Loop: Header=BB4_114 Depth=3
	v_cmp_ne_u32_e64 s[20:21], s68, v24
	v_bfrev_b32_e32 v19, 1
	s_and_saveexec_b64 s[54:55], s[20:21]
	s_cbranch_execz .LBB4_474
; %bb.469:                              ;   in Loop: Header=BB4_114 Depth=3
	v_and_b32_e32 v19, 0x7c000000, v18
	v_bfe_u32 v46, v18, 24, 2
	v_cmp_ne_u32_e64 s[20:21], s72, v19
                                        ; implicit-def: $vgpr19
	s_and_saveexec_b64 s[56:57], s[20:21]
	s_xor_b64 s[56:57], exec, s[56:57]
	s_cbranch_execz .LBB4_471
; %bb.470:                              ;   in Loop: Header=BB4_114 Depth=3
	v_ffbh_u32_e32 v50, v46
	v_min_u32_e32 v40, 32, v50
	v_bfe_u32 v19, v18, 26, 5
	v_subrev_u32_e32 v50, 29, v40
	v_lshlrev_b64 v[50:51], v50, v[24:25]
	v_sub_u32_e32 v24, 30, v40
	v_cmp_eq_u32_e64 s[20:21], 0, v19
	v_cndmask_b32_e64 v19, v19, v24, s[20:21]
	v_and_b32_e32 v50, 3, v50
	v_lshl_add_u32 v19, v19, 23, v47
	v_cndmask_b32_e64 v24, v46, v50, s[20:21]
	v_and_or_b32 v18, v18, s67, v19
	v_lshl_or_b32 v19, v24, 21, v18
                                        ; implicit-def: $vgpr46
                                        ; implicit-def: $vgpr40_vgpr41
.LBB4_471:                              ;   in Loop: Header=BB4_114 Depth=3
	s_andn2_saveexec_b64 s[56:57], s[56:57]
; %bb.472:                              ;   in Loop: Header=BB4_114 Depth=3
	v_cmp_lt_i64_e64 s[20:21], -1, v[40:41]
	v_cndmask_b32_e64 v18, v7, v10, s[20:21]
	v_cmp_eq_u32_e64 s[20:21], 0, v46
	v_cndmask_b32_e64 v19, v11, v18, s[20:21]
; %bb.473:                              ;   in Loop: Header=BB4_114 Depth=3
	s_or_b64 exec, exec, s[56:57]
.LBB4_474:                              ;   in Loop: Header=BB4_114 Depth=3
	s_or_b64 exec, exec, s[54:55]
.LBB4_475:                              ;   in Loop: Header=BB4_114 Depth=3
	s_or_b64 exec, exec, s[52:53]
	v_cmp_lt_u32_e64 s[20:21], s39, v54
	s_and_saveexec_b64 s[52:53], s[20:21]
	s_cbranch_execz .LBB4_483
; %bb.476:                              ;   in Loop: Header=BB4_114 Depth=3
	v_cmp_ne_u32_e64 s[20:21], s68, v2
	v_bfrev_b32_e32 v37, 1
	s_and_saveexec_b64 s[54:55], s[20:21]
	s_cbranch_execz .LBB4_482
; %bb.477:                              ;   in Loop: Header=BB4_114 Depth=3
	v_and_b32_e32 v24, 0x7c000000, v54
	v_bfe_u32 v18, v54, 24, 2
	v_cmp_ne_u32_e64 s[20:21], s72, v24
                                        ; implicit-def: $vgpr37
	s_and_saveexec_b64 s[56:57], s[20:21]
	s_xor_b64 s[56:57], exec, s[56:57]
	s_cbranch_execz .LBB4_479
; %bb.478:                              ;   in Loop: Header=BB4_114 Depth=3
	v_ffbh_u32_e32 v16, v18
	v_min_u32_e32 v37, 32, v16
	v_bfe_u32 v24, v54, 26, 5
	v_subrev_u32_e32 v16, 29, v37
	v_lshlrev_b64 v[16:17], v16, v[2:3]
	v_sub_u32_e32 v2, 30, v37
	v_cmp_eq_u32_e64 s[20:21], 0, v24
	v_cndmask_b32_e64 v2, v24, v2, s[20:21]
	v_and_b32_e32 v16, 3, v16
	v_lshl_add_u32 v2, v2, 23, v47
	v_cndmask_b32_e64 v16, v18, v16, s[20:21]
	v_and_or_b32 v2, v54, s67, v2
	v_lshl_or_b32 v37, v16, 21, v2
                                        ; implicit-def: $vgpr18
                                        ; implicit-def: $vgpr16_vgpr17
.LBB4_479:                              ;   in Loop: Header=BB4_114 Depth=3
	s_andn2_saveexec_b64 s[56:57], s[56:57]
; %bb.480:                              ;   in Loop: Header=BB4_114 Depth=3
	v_cmp_lt_i64_e64 s[20:21], -1, v[16:17]
	v_cndmask_b32_e64 v2, v7, v10, s[20:21]
	v_cmp_eq_u32_e64 s[20:21], 0, v18
	v_cndmask_b32_e64 v37, v11, v2, s[20:21]
; %bb.481:                              ;   in Loop: Header=BB4_114 Depth=3
	s_or_b64 exec, exec, s[56:57]
.LBB4_482:                              ;   in Loop: Header=BB4_114 Depth=3
	s_or_b64 exec, exec, s[54:55]
.LBB4_483:                              ;   in Loop: Header=BB4_114 Depth=3
	s_or_b64 exec, exec, s[52:53]
	v_max_f32_e32 v2, v37, v37
	v_max_f32_e32 v16, v19, v19
	;; [unrolled: 1-line block ×3, first 2 shown]
                                        ; implicit-def: $vgpr2
                                        ; implicit-def: $vgpr24
                                        ; implicit-def: $vgpr16_vgpr17
                                        ; implicit-def: $vgpr40_vgpr41
                                        ; implicit-def: $vgpr18_vgpr19
.LBB4_484:                              ;   in Loop: Header=BB4_114 Depth=3
	s_andn2_saveexec_b64 s[20:21], s[50:51]
	s_cbranch_execz .LBB4_502
; %bb.485:                              ;   in Loop: Header=BB4_114 Depth=3
	v_mov_b32_e32 v37, 0
	v_mov_b32_e32 v19, 0
	s_and_saveexec_b64 s[50:51], vcc
	s_cbranch_execz .LBB4_493
; %bb.486:                              ;   in Loop: Header=BB4_114 Depth=3
	v_cmp_ne_u32_e32 vcc, s68, v24
	v_bfrev_b32_e32 v19, 1
	s_and_saveexec_b64 s[52:53], vcc
	s_cbranch_execz .LBB4_492
; %bb.487:                              ;   in Loop: Header=BB4_114 Depth=3
	v_and_b32_e32 v19, 0x7c000000, v18
	v_bfe_u32 v46, v18, 24, 2
	v_cmp_ne_u32_e32 vcc, s72, v19
                                        ; implicit-def: $vgpr19
	s_and_saveexec_b64 s[54:55], vcc
	s_xor_b64 s[54:55], exec, s[54:55]
	s_cbranch_execz .LBB4_489
; %bb.488:                              ;   in Loop: Header=BB4_114 Depth=3
	v_ffbh_u32_e32 v50, v46
	v_min_u32_e32 v40, 32, v50
	v_bfe_u32 v19, v18, 26, 5
	v_subrev_u32_e32 v50, 29, v40
	v_lshlrev_b64 v[50:51], v50, v[24:25]
	v_sub_u32_e32 v24, 30, v40
	v_cmp_eq_u32_e32 vcc, 0, v19
	v_cndmask_b32_e32 v19, v19, v24, vcc
	v_and_b32_e32 v50, 3, v50
	v_lshl_add_u32 v19, v19, 23, v47
	v_cndmask_b32_e32 v24, v46, v50, vcc
	v_and_or_b32 v18, v18, s67, v19
	v_lshl_or_b32 v19, v24, 21, v18
                                        ; implicit-def: $vgpr46
                                        ; implicit-def: $vgpr40_vgpr41
.LBB4_489:                              ;   in Loop: Header=BB4_114 Depth=3
	s_andn2_saveexec_b64 s[54:55], s[54:55]
; %bb.490:                              ;   in Loop: Header=BB4_114 Depth=3
	v_cmp_lt_i64_e32 vcc, -1, v[40:41]
	v_cndmask_b32_e32 v18, v7, v10, vcc
	v_cmp_eq_u32_e32 vcc, 0, v46
	v_cndmask_b32_e32 v19, v11, v18, vcc
; %bb.491:                              ;   in Loop: Header=BB4_114 Depth=3
	s_or_b64 exec, exec, s[54:55]
.LBB4_492:                              ;   in Loop: Header=BB4_114 Depth=3
	s_or_b64 exec, exec, s[52:53]
.LBB4_493:                              ;   in Loop: Header=BB4_114 Depth=3
	s_or_b64 exec, exec, s[50:51]
	v_cmp_lt_u32_e32 vcc, s39, v54
	s_and_saveexec_b64 s[50:51], vcc
	s_cbranch_execz .LBB4_501
; %bb.494:                              ;   in Loop: Header=BB4_114 Depth=3
	v_cmp_ne_u32_e32 vcc, s68, v2
	v_bfrev_b32_e32 v37, 1
	s_and_saveexec_b64 s[52:53], vcc
	s_cbranch_execz .LBB4_500
; %bb.495:                              ;   in Loop: Header=BB4_114 Depth=3
	v_and_b32_e32 v24, 0x7c000000, v54
	v_bfe_u32 v18, v54, 24, 2
	v_cmp_ne_u32_e32 vcc, s72, v24
                                        ; implicit-def: $vgpr37
	s_and_saveexec_b64 s[54:55], vcc
	s_xor_b64 s[54:55], exec, s[54:55]
	s_cbranch_execz .LBB4_497
; %bb.496:                              ;   in Loop: Header=BB4_114 Depth=3
	v_ffbh_u32_e32 v16, v18
	v_min_u32_e32 v37, 32, v16
	v_bfe_u32 v24, v54, 26, 5
	v_subrev_u32_e32 v16, 29, v37
	v_lshlrev_b64 v[16:17], v16, v[2:3]
	v_sub_u32_e32 v2, 30, v37
	v_cmp_eq_u32_e32 vcc, 0, v24
	v_cndmask_b32_e32 v2, v24, v2, vcc
	v_and_b32_e32 v16, 3, v16
	v_lshl_add_u32 v2, v2, 23, v47
	v_cndmask_b32_e32 v16, v18, v16, vcc
	v_and_or_b32 v2, v54, s67, v2
	v_lshl_or_b32 v37, v16, 21, v2
                                        ; implicit-def: $vgpr18
                                        ; implicit-def: $vgpr16_vgpr17
.LBB4_497:                              ;   in Loop: Header=BB4_114 Depth=3
	s_andn2_saveexec_b64 s[54:55], s[54:55]
; %bb.498:                              ;   in Loop: Header=BB4_114 Depth=3
	v_cmp_lt_i64_e32 vcc, -1, v[16:17]
	v_cndmask_b32_e32 v2, v7, v10, vcc
	v_cmp_eq_u32_e32 vcc, 0, v18
	v_cndmask_b32_e32 v37, v11, v2, vcc
; %bb.499:                              ;   in Loop: Header=BB4_114 Depth=3
	s_or_b64 exec, exec, s[54:55]
.LBB4_500:                              ;   in Loop: Header=BB4_114 Depth=3
	s_or_b64 exec, exec, s[52:53]
.LBB4_501:                              ;   in Loop: Header=BB4_114 Depth=3
	s_or_b64 exec, exec, s[50:51]
	v_max_f32_e32 v2, v37, v37
	v_max_f32_e32 v16, v19, v19
	v_min_f32_e32 v37, v16, v2
.LBB4_502:                              ;   in Loop: Header=BB4_114 Depth=3
	s_or_b64 exec, exec, s[20:21]
	v_and_b32_sdwa v2, v37, s68 dst_sel:DWORD dst_unused:UNUSED_PAD src0_sel:BYTE_3 src1_sel:DWORD
	v_and_b32_e32 v18, 0x7f800000, v37
	v_mov_b32_e32 v19, v55
	v_and_b32_e32 v54, 0x7fffff, v37
	v_or_b32_e32 v16, 0x7b, v2
	v_cmp_ne_u64_e32 vcc, s[40:41], v[18:19]
	s_and_saveexec_b64 s[20:21], vcc
	s_xor_b64 s[50:51], exec, s[20:21]
	s_cbranch_execz .LBB4_512
; %bb.503:                              ;   in Loop: Header=BB4_114 Depth=3
	v_and_b32_e32 v18, 0x7fffffff, v37
	v_mov_b32_e32 v19, v55
	v_cmp_gt_u64_e32 vcc, s[42:43], v[18:19]
	s_and_saveexec_b64 s[52:53], vcc
	s_cbranch_execz .LBB4_511
; %bb.504:                              ;   in Loop: Header=BB4_114 Depth=3
	v_cmp_ne_u32_e32 vcc, 0, v37
	v_mov_b32_e32 v16, 0
	s_and_saveexec_b64 s[54:55], vcc
	s_cbranch_execz .LBB4_510
; %bb.505:                              ;   in Loop: Header=BB4_114 Depth=3
	v_bfe_u32 v16, v37, 23, 8
	v_sub_u32_e32 v18, 0x71, v16
	v_cmp_gt_u32_e32 vcc, s69, v16
	v_cndmask_b32_e32 v18, 0, v18, vcc
	v_cmp_eq_u32_e32 vcc, 0, v16
	v_or_b32_e32 v19, 0x800000, v54
	v_cndmask_b32_e32 v18, v18, v48, vcc
	v_add_u32_e32 v17, 0xffffff81, v16
	v_cndmask_b32_e32 v54, v19, v54, vcc
	v_add_u32_e32 v16, 21, v18
	v_cndmask_b32_e32 v24, v17, v30, vcc
	v_lshlrev_b64 v[16:17], v16, -1
	v_add_u32_e32 v19, 20, v18
	v_lshrrev_b64 v[40:41], v18, v[54:55]
	v_not_b32_e32 v17, v17
	v_not_b32_e32 v16, v16
	v_lshlrev_b64 v[50:51], v19, 1
	v_lshrrev_b32_e32 v19, 23, v40
	v_and_b32_e32 v17, 0, v17
	v_and_b32_e32 v16, v54, v16
	v_add3_u32 v24, v18, v24, v19
	v_bfe_u32 v18, v40, 21, 1
	v_add_u32_e32 v18, -1, v18
	v_cmp_eq_u64_e32 vcc, v[16:17], v[50:51]
	v_cndmask_b32_e32 v16, 0, v18, vcc
	v_add_u32_e32 v16, v16, v40
	v_and_b32_e32 v16, 0x1fffff, v16
	v_add_co_u32_e32 v16, vcc, v16, v40
	v_add_u32_e32 v19, 14, v24
	v_addc_co_u32_e32 v17, vcc, 0, v41, vcc
	v_cmp_ne_u32_e32 vcc, 0, v19
                                        ; implicit-def: $vgpr18
	s_and_saveexec_b64 s[20:21], vcc
	s_xor_b64 s[20:21], exec, s[20:21]
; %bb.506:                              ;   in Loop: Header=BB4_114 Depth=3
	v_add_u32_e32 v18, 15, v24
	v_cmp_lt_u64_e32 vcc, s[44:45], v[16:17]
	v_cndmask_b32_e32 v18, v19, v18, vcc
	v_cndmask_b32_e64 v19, 0, 1, vcc
	v_lshrrev_b64 v[16:17], v19, v[16:17]
; %bb.507:                              ;   in Loop: Header=BB4_114 Depth=3
	s_andn2_saveexec_b64 s[20:21], s[20:21]
; %bb.508:                              ;   in Loop: Header=BB4_114 Depth=3
	v_bfe_u32 v18, v16, 23, 1
; %bb.509:                              ;   in Loop: Header=BB4_114 Depth=3
	s_or_b64 exec, exec, s[20:21]
	v_lshrrev_b64 v[16:17], 21, v[16:17]
	v_cmp_gt_i32_e32 vcc, 32, v18
	v_cndmask_b32_e32 v17, 0, v17, vcc
	v_cndmask_b32_e32 v16, 3, v16, vcc
	v_cmp_eq_u64_e64 s[20:21], 0, v[16:17]
	v_min_i32_e32 v17, 31, v18
	v_lshlrev_b32_e32 v17, 2, v17
	v_cmp_eq_u32_e32 vcc, 0, v18
	v_and_b32_e32 v17, 0xfc, v17
	v_and_or_b32 v16, v16, 3, v17
	s_and_b64 s[20:21], vcc, s[20:21]
	v_cndmask_b32_e64 v16, v16, 0, s[20:21]
	v_or_b32_e32 v16, v16, v2
.LBB4_510:                              ;   in Loop: Header=BB4_114 Depth=3
	s_or_b64 exec, exec, s[54:55]
.LBB4_511:                              ;   in Loop: Header=BB4_114 Depth=3
	s_or_b64 exec, exec, s[52:53]
                                        ; implicit-def: $vgpr37
.LBB4_512:                              ;   in Loop: Header=BB4_114 Depth=3
	s_andn2_saveexec_b64 s[20:21], s[50:51]
	s_cbranch_execz .LBB4_113
; %bb.513:                              ;   in Loop: Header=BB4_114 Depth=3
	v_or_b32_sdwa v2, v37, s70 dst_sel:DWORD dst_unused:UNUSED_PAD src0_sel:BYTE_3 src1_sel:DWORD
	v_cmp_eq_u64_e32 vcc, 0, v[54:55]
	v_cndmask_b32_e32 v16, v2, v16, vcc
	s_branch .LBB4_113
.LBB4_514:                              ;   in Loop: Header=BB4_70 Depth=2
	s_or_b64 exec, exec, s[48:49]
	v_accvgpr_read_b32 v61, a7
	v_accvgpr_read_b32 v33, a11
	;; [unrolled: 1-line block ×6, first 2 shown]
	s_or_b64 exec, exec, s[46:47]
	s_and_saveexec_b64 s[20:21], s[10:11]
	s_cbranch_execz .LBB4_74
.LBB4_515:                              ;   in Loop: Header=BB4_70 Depth=2
	s_and_saveexec_b64 vcc, s[30:31]
	s_xor_b64 s[46:47], exec, vcc
	s_cbranch_execz .LBB4_530
; %bb.516:                              ;   in Loop: Header=BB4_70 Depth=2
	s_and_saveexec_b64 s[48:49], s[12:13]
	s_cbranch_execz .LBB4_529
; %bb.517:                              ;   in Loop: Header=BB4_70 Depth=2
	s_mov_b64 s[52:53], exec
	v_mbcnt_lo_u32_b32 v1, s52, 0
	v_mbcnt_hi_u32_b32 v1, s53, v1
	v_cmp_eq_u32_e32 vcc, 0, v1
	s_waitcnt vmcnt(0) lgkmcnt(0)
	buffer_wbinvl1_vol
	s_and_saveexec_b64 s[50:51], vcc
	s_cbranch_execz .LBB4_519
; %bb.518:                              ;   in Loop: Header=BB4_70 Depth=2
	s_bcnt1_i32_b64 vcc_lo, s[52:53]
	v_mov_b32_e32 v54, vcc_lo
	ds_add_u64 v0, v[54:55]
	s_trap 2
.LBB4_519:                              ;   in Loop: Header=BB4_70 Depth=2
	s_or_b64 exec, exec, s[50:51]
	s_trap 2
	ds_read_b64 v[2:3], v0
	v_accvgpr_read_b32 v4, a30
	v_add_co_u32_e32 v42, vcc, v42, v4
	v_accvgpr_read_b32 v1, a41
	v_addc_co_u32_e32 v43, vcc, v43, v1, vcc
	s_waitcnt lgkmcnt(0)
	v_cmp_lt_u64_e32 vcc, v[2:3], v[42:43]
	s_and_saveexec_b64 s[50:51], vcc
	s_cbranch_execz .LBB4_528
; %bb.520:                              ;   in Loop: Header=BB4_70 Depth=2
	s_mov_b32 s79, 0
	s_mov_b64 s[52:53], 0
                                        ; implicit-def: $sgpr54_sgpr55
                                        ; implicit-def: $sgpr56_sgpr57
	s_branch .LBB4_522
.LBB4_521:                              ;   in Loop: Header=BB4_522 Depth=3
	s_or_b64 exec, exec, s[60:61]
	s_and_b64 vcc, exec, vcc
	s_or_b64 s[52:53], vcc, s[52:53]
	s_andn2_b64 vcc, s[54:55], exec
	s_and_b64 s[54:55], s[56:57], exec
	s_or_b64 s[54:55], vcc, s[54:55]
	s_andn2_b64 exec, exec, s[52:53]
	s_cbranch_execz .LBB4_526
.LBB4_522:                              ;   Parent Loop BB4_21 Depth=1
                                        ;     Parent Loop BB4_70 Depth=2
                                        ; =>    This Inner Loop Header: Depth=3
	s_add_i32 s79, s79, 1
	s_cmpk_lg_i32 s79, 0x2710
	s_cselect_b64 s[58:59], -1, 0
	s_and_b64 vcc, exec, s[58:59]
                                        ; implicit-def: $sgpr60_sgpr61
	s_cbranch_vccnz .LBB4_524
; %bb.523:                              ;   in Loop: Header=BB4_522 Depth=3
	s_trap 2
	ds_read_b64 v[2:3], v0
	s_andn2_b64 s[58:59], s[58:59], exec
	s_mov_b32 s79, 0
	s_mov_b64 s[60:61], -1
	s_waitcnt lgkmcnt(0)
	flat_load_dword v1, v[2:3] glc
	s_waitcnt vmcnt(0) lgkmcnt(0)
	buffer_invl2
	buffer_wbinvl1_vol
	v_cmp_eq_u32_e32 vcc, 0, v1
	s_and_b64 vcc, vcc, exec
	s_or_b64 s[58:59], s[58:59], vcc
.LBB4_524:                              ;   in Loop: Header=BB4_522 Depth=3
	s_andn2_b64 s[56:57], s[56:57], exec
	s_and_b64 s[60:61], s[60:61], exec
	s_mov_b64 vcc, -1
	s_or_b64 s[56:57], s[56:57], s[60:61]
	s_and_saveexec_b64 s[60:61], s[58:59]
	s_cbranch_execz .LBB4_521
; %bb.525:                              ;   in Loop: Header=BB4_522 Depth=3
	s_sleep 1
	s_trap 2
	ds_read_b64 v[2:3], v0
	s_andn2_b64 s[56:57], s[56:57], exec
	s_waitcnt lgkmcnt(0)
	v_cmp_ge_u64_e32 vcc, v[2:3], v[42:43]
	s_orn2_b64 vcc, vcc, exec
	s_branch .LBB4_521
.LBB4_526:                              ;   in Loop: Header=BB4_70 Depth=2
	s_or_b64 exec, exec, s[52:53]
	s_and_saveexec_b64 vcc, s[54:55]
	s_xor_b64 vcc, exec, vcc
	s_cbranch_execz .LBB4_528
; %bb.527:                              ;   in Loop: Header=BB4_70 Depth=2
	v_mov_b32_e32 v1, 1
	ds_write_b32 v0, v1
	s_trap 2
.LBB4_528:                              ;   in Loop: Header=BB4_70 Depth=2
	s_or_b64 exec, exec, s[50:51]
	;;#ASMSTART
	s_wakeup
	;;#ASMEND
.LBB4_529:                              ;   in Loop: Header=BB4_70 Depth=2
	s_or_b64 exec, exec, s[48:49]
.LBB4_530:                              ;   in Loop: Header=BB4_70 Depth=2
	s_andn2_saveexec_b64 vcc, s[46:47]
	s_cbranch_execz .LBB4_532
; %bb.531:                              ;   in Loop: Header=BB4_70 Depth=2
	s_waitcnt vmcnt(0) lgkmcnt(0)
	buffer_wbinvl1_vol
	s_barrier
.LBB4_532:                              ;   in Loop: Header=BB4_70 Depth=2
	s_or_b64 exec, exec, vcc
	s_or_b64 exec, exec, s[20:21]
	s_and_saveexec_b64 s[20:21], s[16:17]
	s_cbranch_execnz .LBB4_75
	s_branch .LBB4_76
.LBB4_533:                              ;   in Loop: Header=BB4_21 Depth=1
	v_accvgpr_write_b32 a46, v1
	v_accvgpr_write_b32 a45, v2
	v_pk_mov_b32 v[16:17], v[28:29], v[28:29] op_sel:[0,1]
	s_branch .LBB4_535
.LBB4_534:                              ;   in Loop: Header=BB4_21 Depth=1
	v_pk_mov_b32 v[16:17], v[28:29], v[28:29] op_sel:[0,1]
	v_accvgpr_read_b32 v31, a38
.LBB4_535:                              ;   in Loop: Header=BB4_21 Depth=1
	v_accvgpr_read_b32 v1, a45
	v_accvgpr_read_b32 v4, a46
; %bb.536:                              ;   in Loop: Header=BB4_21 Depth=1
	s_and_saveexec_b64 s[20:21], s[18:19]
	s_cbranch_execz .LBB4_958
; %bb.537:                              ;   in Loop: Header=BB4_21 Depth=1
	flat_load_dword v8, v[60:61]
	s_waitcnt vmcnt(0) lgkmcnt(0)
	v_accvgpr_read_b32 v2, a12
	v_accvgpr_read_b32 v3, a13
	v_add_co_u32_e32 v2, vcc, v2, v1
	v_addc_co_u32_e32 v3, vcc, v3, v4, vcc
	v_accvgpr_read_b32 v0, a34
	v_add_co_u32_e32 v0, vcc, v0, v1
	v_accvgpr_read_b32 v1, a35
	v_addc_co_u32_e32 v1, vcc, v1, v4, vcc
	v_and_b32_e32 v4, 7, v34
	v_mul_lo_u32 v4, v4, s62
	v_ashrrev_i32_e32 v5, 31, v4
	v_lshlrev_b64 v[4:5], 4, v[4:5]
	v_accvgpr_read_b32 v18, a18
	v_accvgpr_read_b32 v19, a19
	v_add_co_u32_e32 v44, vcc, v18, v4
	v_addc_co_u32_e32 v45, vcc, v19, v5, vcc
	v_accvgpr_read_b32 v5, a26
	v_accvgpr_read_b32 v9, a3
	v_add_u32_e32 v31, 1, v34
	s_mov_b64 s[46:47], 0
	v_accvgpr_read_b32 v26, a2
	v_ashrrev_i32_e32 v4, 31, v8
	v_mul_lo_u32 v5, v5, v8
	v_mad_u64_u32 v[2:3], s[18:19], v9, v8, v[2:3]
	v_mul_lo_u32 v4, v9, v4
	v_add3_u32 v3, v5, v3, v4
	v_accvgpr_read_b32 v4, a32
	v_add_co_u32_e32 v18, vcc, v2, v4
	v_accvgpr_read_b32 v5, a27
	v_addc_co_u32_e32 v19, vcc, v3, v5, vcc
	s_branch .LBB4_539
.LBB4_538:                              ;   in Loop: Header=BB4_539 Depth=2
	v_add_co_u32_e32 v18, vcc, v18, v56
	v_addc_co_u32_e32 v19, vcc, v19, v57, vcc
	v_add_co_u32_e32 v0, vcc, v0, v56
	v_addc_co_u32_e32 v1, vcc, v1, v57, vcc
	v_sub_u32_e32 v62, v62, v56
	v_cmp_gt_i32_e32 vcc, 1, v62
	s_or_b64 s[46:47], vcc, s[46:47]
	v_add_u32_e32 v26, v26, v20
	s_andn2_b64 exec, exec, s[46:47]
	s_cbranch_execz .LBB4_957
.LBB4_539:                              ;   Parent Loop BB4_21 Depth=1
                                        ; =>  This Loop Header: Depth=2
                                        ;       Child Loop BB4_547 Depth 3
	v_and_b32_e32 v2, -4, v18
	v_mov_b32_e32 v3, v19
	global_load_dword v8, v[2:3], off glc slc
	v_min_u32_e32 v4, 8, v62
	v_and_b32_e32 v5, 3, v18
	v_add_co_u32_e32 v4, vcc, v5, v4
	v_addc_co_u32_e64 v5, s[18:19], 0, 0, vcc
	v_mov_b32_e32 v32, 0
	v_cmp_lt_u64_e32 vcc, 4, v[4:5]
	v_mov_b32_e32 v33, 0
	s_and_saveexec_b64 s[18:19], vcc
	s_cbranch_execz .LBB4_541
; %bb.540:                              ;   in Loop: Header=BB4_539 Depth=2
	global_load_dword v33, v[2:3], off offset:4 glc slc
.LBB4_541:                              ;   in Loop: Header=BB4_539 Depth=2
	s_or_b64 exec, exec, s[18:19]
	v_cmp_lt_u64_e32 vcc, 8, v[4:5]
	s_and_saveexec_b64 s[18:19], vcc
	s_cbranch_execz .LBB4_543
; %bb.542:                              ;   in Loop: Header=BB4_539 Depth=2
	global_load_dword v32, v[2:3], off offset:8 glc slc
.LBB4_543:                              ;   in Loop: Header=BB4_539 Depth=2
	s_or_b64 exec, exec, s[18:19]
	v_ashrrev_i32_e32 v27, 31, v26
	v_lshlrev_b64 v[2:3], 4, v[26:27]
	v_add_co_u32_e32 v28, vcc, v44, v2
	v_addc_co_u32_e32 v29, vcc, v45, v3, vcc
	global_load_dwordx4 v[2:5], v[28:29], off glc slc
	v_cmp_eq_u32_e32 vcc, 0, v49
	s_and_saveexec_b64 s[48:49], vcc
	s_cbranch_execz .LBB4_555
; %bb.544:                              ;   in Loop: Header=BB4_539 Depth=2
	s_waitcnt vmcnt(0)
	v_cmp_ne_u32_e32 vcc, v31, v3
	v_cmp_ne_u32_e64 s[18:19], v31, v5
	s_or_b64 s[18:19], vcc, s[18:19]
	v_mov_b32_e32 v49, 0
	s_and_saveexec_b64 s[50:51], s[18:19]
	s_cbranch_execz .LBB4_554
; %bb.545:                              ;   in Loop: Header=BB4_539 Depth=2
	s_mov_b32 s56, 1
	s_mov_b64 s[52:53], 0
	v_mov_b32_e32 v49, 0
	s_branch .LBB4_547
.LBB4_546:                              ;   in Loop: Header=BB4_547 Depth=3
	s_or_b64 exec, exec, s[54:55]
	s_and_b64 s[18:19], exec, s[18:19]
	s_or_b64 s[52:53], s[18:19], s[52:53]
	s_andn2_b64 exec, exec, s[52:53]
	s_cbranch_execz .LBB4_553
.LBB4_547:                              ;   Parent Loop BB4_21 Depth=1
                                        ;     Parent Loop BB4_539 Depth=2
                                        ; =>    This Inner Loop Header: Depth=3
	global_load_dwordx4 v[2:5], v[28:29], off glc slc
	s_add_i32 s56, s56, 1
	s_cmpk_lg_i32 s56, 0x2710
	s_cbranch_scc1 .LBB4_551
; %bb.548:                              ;   in Loop: Header=BB4_547 Depth=3
	s_trap 2
	ds_read_b64 v[22:23], v0
	s_waitcnt vmcnt(0) lgkmcnt(0)
	flat_load_dword v9, v[22:23] glc
	s_waitcnt vmcnt(0) lgkmcnt(0)
	buffer_invl2
	buffer_wbinvl1_vol
	v_cmp_ne_u32_e32 vcc, 0, v9
	s_and_saveexec_b64 s[18:19], vcc
	s_cbranch_execz .LBB4_550
; %bb.549:                              ;   in Loop: Header=BB4_547 Depth=3
	v_mov_b32_e32 v49, 1
	ds_write_b32 v0, v9
	s_trap 2
.LBB4_550:                              ;   in Loop: Header=BB4_547 Depth=3
	s_or_b64 exec, exec, s[18:19]
	s_mov_b32 s56, 0
	v_mov_b32_e32 v9, v49
	v_cmp_eq_u32_e32 vcc, 0, v9
	s_mov_b64 s[18:19], -1
	s_and_saveexec_b64 s[54:55], vcc
	s_cbranch_execz .LBB4_546
	s_branch .LBB4_552
.LBB4_551:                              ;   in Loop: Header=BB4_547 Depth=3
	v_mov_b32_e32 v9, 0
	v_cmp_eq_u32_e32 vcc, 0, v9
	s_mov_b64 s[18:19], -1
	s_and_saveexec_b64 s[54:55], vcc
	s_cbranch_execz .LBB4_546
.LBB4_552:                              ;   in Loop: Header=BB4_547 Depth=3
	s_waitcnt vmcnt(0)
	v_cmp_eq_u32_e32 vcc, v31, v3
	v_cmp_eq_u32_e64 s[18:19], v31, v5
	s_and_b64 s[18:19], vcc, s[18:19]
	s_orn2_b64 s[18:19], s[18:19], exec
	s_branch .LBB4_546
.LBB4_553:                              ;   in Loop: Header=BB4_539 Depth=2
	s_or_b64 exec, exec, s[52:53]
.LBB4_554:                              ;   in Loop: Header=BB4_539 Depth=2
	s_or_b64 exec, exec, s[50:51]
.LBB4_555:                              ;   in Loop: Header=BB4_539 Depth=2
	s_or_b64 exec, exec, s[48:49]
	v_lshlrev_b32_e32 v22, 3, v18
	s_waitcnt vmcnt(0)
	v_alignbit_b32 v54, v33, v8, v22
	s_waitcnt vmcnt(0)
	v_cmp_ne_u16_sdwa s[18:19], v2, v55 src0_sel:BYTE_0 src1_sel:DWORD
                                        ; implicit-def: $vgpr9
	s_and_saveexec_b64 vcc, s[14:15]
	s_xor_b64 s[48:49], exec, vcc
	s_cbranch_execz .LBB4_573
; %bb.556:                              ;   in Loop: Header=BB4_539 Depth=2
	v_mov_b32_e32 v9, 0
	v_mov_b32_e32 v8, 0
	s_and_saveexec_b64 s[50:51], s[18:19]
	s_cbranch_execz .LBB4_564
; %bb.557:                              ;   in Loop: Header=BB4_539 Depth=2
	v_cmp_ne_u16_sdwa vcc, sext(v2), s65 src0_sel:BYTE_0 src1_sel:DWORD
	v_bfrev_b32_e32 v8, 1
	s_and_saveexec_b64 s[52:53], vcc
	s_cbranch_execz .LBB4_563
; %bb.558:                              ;   in Loop: Header=BB4_539 Depth=2
	v_and_b32_e32 v8, 0x7c, v2
	v_and_b32_e32 v21, 3, v2
	v_cmp_ne_u32_e32 vcc, s66, v8
                                        ; implicit-def: $vgpr8
	s_and_saveexec_b64 s[54:55], vcc
	s_xor_b64 s[54:55], exec, s[54:55]
	s_cbranch_execz .LBB4_560
; %bb.559:                              ;   in Loop: Header=BB4_539 Depth=2
	v_ffbh_u32_e32 v23, v21
	v_bfe_u32 v8, v2, 2, 5
	v_min_u32_e32 v23, 32, v23
	v_subrev_u32_e32 v24, 29, v23
	v_sub_u32_e32 v23, 30, v23
	v_cmp_eq_u32_e32 vcc, 0, v8
	v_lshlrev_b64 v[24:25], v24, v[2:3]
	v_cndmask_b32_e32 v8, v8, v23, vcc
	v_and_b32_e32 v24, 3, v24
	v_lshlrev_b32_e32 v23, 24, v2
	v_lshl_add_u32 v8, v8, 23, v47
	v_cndmask_b32_e32 v21, v21, v24, vcc
	v_and_or_b32 v8, v23, s67, v8
	v_lshl_or_b32 v8, v21, 21, v8
                                        ; implicit-def: $vgpr21
.LBB4_560:                              ;   in Loop: Header=BB4_539 Depth=2
	s_andn2_saveexec_b64 s[54:55], s[54:55]
; %bb.561:                              ;   in Loop: Header=BB4_539 Depth=2
	v_cmp_gt_i16_sdwa vcc, sext(v2), v6 src0_sel:BYTE_0 src1_sel:DWORD
	v_cndmask_b32_e32 v8, v7, v10, vcc
	v_cmp_eq_u32_e32 vcc, 0, v21
	v_cndmask_b32_e32 v8, v11, v8, vcc
; %bb.562:                              ;   in Loop: Header=BB4_539 Depth=2
	s_or_b64 exec, exec, s[54:55]
.LBB4_563:                              ;   in Loop: Header=BB4_539 Depth=2
	s_or_b64 exec, exec, s[52:53]
.LBB4_564:                              ;   in Loop: Header=BB4_539 Depth=2
	s_or_b64 exec, exec, s[50:51]
	v_cmp_ne_u16_sdwa vcc, sext(v54), v55 src0_sel:BYTE_0 src1_sel:DWORD
	s_and_saveexec_b64 s[50:51], vcc
	s_cbranch_execz .LBB4_572
; %bb.565:                              ;   in Loop: Header=BB4_539 Depth=2
	v_cmp_ne_u16_sdwa vcc, sext(v54), s65 src0_sel:BYTE_0 src1_sel:DWORD
	v_bfrev_b32_e32 v9, 1
	s_and_saveexec_b64 s[52:53], vcc
	s_cbranch_execz .LBB4_571
; %bb.566:                              ;   in Loop: Header=BB4_539 Depth=2
	v_and_b32_e32 v9, 0x7c, v54
	v_and_b32_e32 v21, 3, v54
	v_cmp_ne_u32_e32 vcc, s66, v9
                                        ; implicit-def: $vgpr9
	s_and_saveexec_b64 s[54:55], vcc
	s_xor_b64 s[54:55], exec, s[54:55]
	s_cbranch_execz .LBB4_568
; %bb.567:                              ;   in Loop: Header=BB4_539 Depth=2
	v_ffbh_u32_e32 v23, v21
	v_bfe_u32 v9, v54, 2, 5
	v_min_u32_e32 v23, 32, v23
	v_subrev_u32_e32 v24, 29, v23
	v_sub_u32_e32 v23, 30, v23
	v_cmp_eq_u32_e32 vcc, 0, v9
	v_lshlrev_b64 v[24:25], v24, v[54:55]
	v_cndmask_b32_e32 v9, v9, v23, vcc
	v_and_b32_e32 v24, 3, v24
	v_lshlrev_b32_e32 v23, 24, v54
	v_lshl_add_u32 v9, v9, 23, v47
	v_cndmask_b32_e32 v21, v21, v24, vcc
	v_and_or_b32 v9, v23, s67, v9
	v_lshl_or_b32 v9, v21, 21, v9
                                        ; implicit-def: $vgpr21
.LBB4_568:                              ;   in Loop: Header=BB4_539 Depth=2
	s_andn2_saveexec_b64 s[54:55], s[54:55]
; %bb.569:                              ;   in Loop: Header=BB4_539 Depth=2
	v_cmp_gt_i16_sdwa vcc, sext(v54), v6 src0_sel:BYTE_0 src1_sel:DWORD
	v_cndmask_b32_e32 v9, v7, v10, vcc
	v_cmp_eq_u32_e32 vcc, 0, v21
	v_cndmask_b32_e32 v9, v11, v9, vcc
; %bb.570:                              ;   in Loop: Header=BB4_539 Depth=2
	s_or_b64 exec, exec, s[54:55]
.LBB4_571:                              ;   in Loop: Header=BB4_539 Depth=2
	s_or_b64 exec, exec, s[52:53]
.LBB4_572:                              ;   in Loop: Header=BB4_539 Depth=2
	s_or_b64 exec, exec, s[50:51]
	v_max_f32_e32 v9, v9, v9
	v_max_f32_e32 v8, v8, v8
	;; [unrolled: 1-line block ×3, first 2 shown]
.LBB4_573:                              ;   in Loop: Header=BB4_539 Depth=2
	s_andn2_saveexec_b64 s[48:49], s[48:49]
	s_cbranch_execz .LBB4_591
; %bb.574:                              ;   in Loop: Header=BB4_539 Depth=2
	v_mov_b32_e32 v9, 0
	v_mov_b32_e32 v8, 0
	s_and_saveexec_b64 s[50:51], s[18:19]
	s_cbranch_execz .LBB4_582
; %bb.575:                              ;   in Loop: Header=BB4_539 Depth=2
	v_cmp_ne_u16_sdwa vcc, sext(v2), s65 src0_sel:BYTE_0 src1_sel:DWORD
	v_bfrev_b32_e32 v8, 1
	s_and_saveexec_b64 s[18:19], vcc
	s_cbranch_execz .LBB4_581
; %bb.576:                              ;   in Loop: Header=BB4_539 Depth=2
	v_and_b32_e32 v8, 0x7c, v2
	v_and_b32_e32 v21, 3, v2
	v_cmp_ne_u32_e32 vcc, s66, v8
                                        ; implicit-def: $vgpr8
	s_and_saveexec_b64 s[52:53], vcc
	s_xor_b64 s[52:53], exec, s[52:53]
	s_cbranch_execz .LBB4_578
; %bb.577:                              ;   in Loop: Header=BB4_539 Depth=2
	v_ffbh_u32_e32 v23, v21
	v_min_u32_e32 v23, 32, v23
	v_bfe_u32 v8, v2, 2, 5
	v_subrev_u32_e32 v24, 29, v23
	v_lshlrev_b64 v[24:25], v24, v[2:3]
	v_sub_u32_e32 v3, 30, v23
	v_cmp_eq_u32_e32 vcc, 0, v8
	v_and_b32_e32 v23, 3, v24
	v_cndmask_b32_e32 v3, v8, v3, vcc
	v_cndmask_b32_e32 v8, v21, v23, vcc
	v_lshlrev_b32_e32 v21, 24, v2
	v_lshl_add_u32 v3, v3, 23, v47
	v_and_or_b32 v3, v21, s67, v3
	v_lshl_or_b32 v8, v8, 21, v3
                                        ; implicit-def: $vgpr21
.LBB4_578:                              ;   in Loop: Header=BB4_539 Depth=2
	s_andn2_saveexec_b64 s[52:53], s[52:53]
; %bb.579:                              ;   in Loop: Header=BB4_539 Depth=2
	v_cmp_gt_i16_sdwa vcc, sext(v2), v6 src0_sel:BYTE_0 src1_sel:DWORD
	v_cndmask_b32_e32 v3, v7, v10, vcc
	v_cmp_eq_u32_e32 vcc, 0, v21
	v_cndmask_b32_e32 v8, v11, v3, vcc
; %bb.580:                              ;   in Loop: Header=BB4_539 Depth=2
	s_or_b64 exec, exec, s[52:53]
.LBB4_581:                              ;   in Loop: Header=BB4_539 Depth=2
	s_or_b64 exec, exec, s[18:19]
.LBB4_582:                              ;   in Loop: Header=BB4_539 Depth=2
	s_or_b64 exec, exec, s[50:51]
	v_cmp_ne_u16_sdwa vcc, sext(v54), v55 src0_sel:BYTE_0 src1_sel:DWORD
	s_and_saveexec_b64 s[18:19], vcc
	s_cbranch_execz .LBB4_590
; %bb.583:                              ;   in Loop: Header=BB4_539 Depth=2
	v_cmp_ne_u16_sdwa vcc, sext(v54), s65 src0_sel:BYTE_0 src1_sel:DWORD
	v_bfrev_b32_e32 v9, 1
	s_and_saveexec_b64 s[50:51], vcc
	s_cbranch_execz .LBB4_589
; %bb.584:                              ;   in Loop: Header=BB4_539 Depth=2
	v_and_b32_e32 v9, 0x7c, v54
	v_and_b32_e32 v3, 3, v54
	v_cmp_ne_u32_e32 vcc, s66, v9
                                        ; implicit-def: $vgpr9
	s_and_saveexec_b64 s[52:53], vcc
	s_xor_b64 s[52:53], exec, s[52:53]
	s_cbranch_execz .LBB4_586
; %bb.585:                              ;   in Loop: Header=BB4_539 Depth=2
	v_ffbh_u32_e32 v21, v3
	v_bfe_u32 v9, v54, 2, 5
	v_min_u32_e32 v21, 32, v21
	v_subrev_u32_e32 v23, 29, v21
	v_sub_u32_e32 v21, 30, v21
	v_cmp_eq_u32_e32 vcc, 0, v9
	v_lshlrev_b64 v[24:25], v23, v[54:55]
	v_cndmask_b32_e32 v9, v9, v21, vcc
	v_and_b32_e32 v23, 3, v24
	v_lshlrev_b32_e32 v21, 24, v54
	v_lshl_add_u32 v9, v9, 23, v47
	v_cndmask_b32_e32 v3, v3, v23, vcc
	v_and_or_b32 v9, v21, s67, v9
	v_lshl_or_b32 v9, v3, 21, v9
                                        ; implicit-def: $vgpr3
.LBB4_586:                              ;   in Loop: Header=BB4_539 Depth=2
	s_andn2_saveexec_b64 s[52:53], s[52:53]
; %bb.587:                              ;   in Loop: Header=BB4_539 Depth=2
	v_cmp_gt_i16_sdwa vcc, sext(v54), v6 src0_sel:BYTE_0 src1_sel:DWORD
	v_cndmask_b32_e32 v9, v7, v10, vcc
	v_cmp_eq_u32_e32 vcc, 0, v3
	v_cndmask_b32_e32 v9, v11, v9, vcc
; %bb.588:                              ;   in Loop: Header=BB4_539 Depth=2
	s_or_b64 exec, exec, s[52:53]
.LBB4_589:                              ;   in Loop: Header=BB4_539 Depth=2
	s_or_b64 exec, exec, s[50:51]
.LBB4_590:                              ;   in Loop: Header=BB4_539 Depth=2
	s_or_b64 exec, exec, s[18:19]
	v_max_f32_e32 v3, v9, v9
	v_max_f32_e32 v8, v8, v8
	v_min_f32_e32 v9, v8, v3
.LBB4_591:                              ;   in Loop: Header=BB4_539 Depth=2
	s_or_b64 exec, exec, s[48:49]
	v_and_b32_sdwa v3, v9, s68 dst_sel:DWORD dst_unused:UNUSED_PAD src0_sel:BYTE_3 src1_sel:DWORD
	v_and_b32_e32 v28, 0x7f800000, v9
	v_mov_b32_e32 v29, v55
	v_and_b32_e32 v24, 0x7fffff, v9
	v_mov_b32_e32 v25, v55
	v_or_b32_e32 v8, 0x7b, v3
	v_cmp_ne_u64_e32 vcc, s[40:41], v[28:29]
	s_and_saveexec_b64 s[18:19], vcc
	s_xor_b64 s[48:49], exec, s[18:19]
	s_cbranch_execz .LBB4_601
; %bb.592:                              ;   in Loop: Header=BB4_539 Depth=2
	v_and_b32_e32 v28, 0x7fffffff, v9
	v_mov_b32_e32 v29, v55
	v_cmp_gt_u64_e32 vcc, s[42:43], v[28:29]
	s_and_saveexec_b64 s[50:51], vcc
	s_cbranch_execz .LBB4_600
; %bb.593:                              ;   in Loop: Header=BB4_539 Depth=2
	v_cmp_ne_u32_e32 vcc, 0, v9
	v_mov_b32_e32 v8, 0
	s_and_saveexec_b64 s[52:53], vcc
	s_cbranch_execz .LBB4_599
; %bb.594:                              ;   in Loop: Header=BB4_539 Depth=2
	v_bfe_u32 v8, v9, 23, 8
	v_sub_u32_e32 v21, 0x71, v8
	v_cmp_gt_u32_e32 vcc, s69, v8
	v_cndmask_b32_e32 v21, 0, v21, vcc
	v_cmp_eq_u32_e32 vcc, 0, v8
	v_cndmask_b32_e32 v21, v21, v48, vcc
	v_add_u32_e32 v9, 0xffffff81, v8
	v_add_u32_e32 v8, 21, v21
	v_or_b32_e32 v23, 0x800000, v24
	v_cndmask_b32_e32 v27, v9, v30, vcc
	v_lshlrev_b64 v[8:9], v8, -1
	v_cndmask_b32_e32 v24, v23, v24, vcc
	v_not_b32_e32 v8, v8
	v_and_b32_e32 v28, v24, v8
	v_add_u32_e32 v8, 20, v21
	v_lshrrev_b64 v[24:25], v21, v[24:25]
	v_not_b32_e32 v9, v9
	v_lshlrev_b64 v[36:37], v8, 1
	v_lshrrev_b32_e32 v8, 23, v24
	v_and_b32_e32 v29, 0, v9
	v_add3_u32 v21, v21, v27, v8
	v_bfe_u32 v8, v24, 21, 1
	v_add_u32_e32 v8, -1, v8
	v_cmp_eq_u64_e32 vcc, v[28:29], v[36:37]
	v_cndmask_b32_e32 v8, 0, v8, vcc
	v_add_u32_e32 v8, v8, v24
	v_and_b32_e32 v8, 0x1fffff, v8
	v_add_co_u32_e32 v24, vcc, v8, v24
	v_add_u32_e32 v9, 14, v21
	v_addc_co_u32_e32 v25, vcc, 0, v25, vcc
	v_cmp_ne_u32_e32 vcc, 0, v9
                                        ; implicit-def: $vgpr8
	s_and_saveexec_b64 s[18:19], vcc
	s_xor_b64 s[18:19], exec, s[18:19]
; %bb.595:                              ;   in Loop: Header=BB4_539 Depth=2
	v_add_u32_e32 v8, 15, v21
	v_cmp_lt_u64_e32 vcc, s[44:45], v[24:25]
	v_cndmask_b32_e32 v8, v9, v8, vcc
	v_cndmask_b32_e64 v9, 0, 1, vcc
	v_lshrrev_b64 v[24:25], v9, v[24:25]
; %bb.596:                              ;   in Loop: Header=BB4_539 Depth=2
	s_andn2_saveexec_b64 s[18:19], s[18:19]
; %bb.597:                              ;   in Loop: Header=BB4_539 Depth=2
	v_bfe_u32 v8, v24, 23, 1
; %bb.598:                              ;   in Loop: Header=BB4_539 Depth=2
	s_or_b64 exec, exec, s[18:19]
	v_lshrrev_b64 v[24:25], 21, v[24:25]
	v_cmp_gt_i32_e32 vcc, 32, v8
	v_cndmask_b32_e32 v25, 0, v25, vcc
	v_cndmask_b32_e32 v24, 3, v24, vcc
	v_cmp_eq_u32_e32 vcc, 0, v8
	v_min_i32_e32 v8, 31, v8
	v_cmp_eq_u64_e64 s[18:19], 0, v[24:25]
	v_lshlrev_b32_e32 v8, 2, v8
	v_and_or_b32 v8, v24, 3, v8
	s_and_b64 s[18:19], vcc, s[18:19]
	v_cndmask_b32_e64 v8, v8, 0, s[18:19]
	v_or_b32_e32 v8, v8, v3
.LBB4_599:                              ;   in Loop: Header=BB4_539 Depth=2
	s_or_b64 exec, exec, s[52:53]
.LBB4_600:                              ;   in Loop: Header=BB4_539 Depth=2
	s_or_b64 exec, exec, s[50:51]
                                        ; implicit-def: $vgpr9
                                        ; implicit-def: $vgpr24_vgpr25
.LBB4_601:                              ;   in Loop: Header=BB4_539 Depth=2
	s_andn2_saveexec_b64 s[18:19], s[48:49]
; %bb.602:                              ;   in Loop: Header=BB4_539 Depth=2
	v_or_b32_sdwa v3, v9, s70 dst_sel:DWORD dst_unused:UNUSED_PAD src0_sel:BYTE_3 src1_sel:DWORD
	v_cmp_eq_u64_e32 vcc, 0, v[24:25]
	v_cndmask_b32_e32 v8, v3, v8, vcc
; %bb.603:                              ;   in Loop: Header=BB4_539 Depth=2
	s_or_b64 exec, exec, s[18:19]
	v_lshrrev_b16_e32 v24, 8, v2
	v_lshrrev_b16_e32 v28, 8, v54
	v_cmp_ne_u16_e32 vcc, 0, v24
                                        ; implicit-def: $vgpr21
	s_and_saveexec_b64 s[18:19], s[14:15]
	s_xor_b64 s[48:49], exec, s[18:19]
	s_cbranch_execz .LBB4_621
; %bb.604:                              ;   in Loop: Header=BB4_539 Depth=2
	v_mov_b32_e32 v9, 0
	v_mov_b32_e32 v3, 0
	s_and_saveexec_b64 s[50:51], vcc
	s_cbranch_execz .LBB4_612
; %bb.605:                              ;   in Loop: Header=BB4_539 Depth=2
	v_cmp_ne_u16_e64 s[18:19], s68, v24
	v_bfrev_b32_e32 v3, 1
	s_and_saveexec_b64 s[52:53], s[18:19]
	s_cbranch_execz .LBB4_611
; %bb.606:                              ;   in Loop: Header=BB4_539 Depth=2
	v_and_b32_e32 v3, 0x7c, v24
	v_and_b32_e32 v21, 3, v24
	v_cmp_ne_u32_e64 s[18:19], s66, v3
                                        ; implicit-def: $vgpr3
	s_and_saveexec_b64 s[54:55], s[18:19]
	s_xor_b64 s[54:55], exec, s[54:55]
	s_cbranch_execz .LBB4_608
; %bb.607:                              ;   in Loop: Header=BB4_539 Depth=2
	v_ffbh_u32_e32 v23, v21
	v_bfe_u32 v3, v24, 2, 5
	v_min_u32_e32 v23, 32, v23
	v_mov_b32_e32 v25, v55
	v_subrev_u32_e32 v27, 29, v23
	v_sub_u32_e32 v23, 30, v23
	v_cmp_eq_u32_e64 s[18:19], 0, v3
	v_lshlrev_b64 v[24:25], v27, v[24:25]
	v_cndmask_b32_e64 v3, v3, v23, s[18:19]
	v_and_b32_e32 v24, 3, v24
	v_lshlrev_b32_e32 v23, 16, v2
	v_lshl_add_u32 v3, v3, 23, v47
	v_cndmask_b32_e64 v21, v21, v24, s[18:19]
	v_and_or_b32 v3, v23, s67, v3
	v_lshl_or_b32 v3, v21, 21, v3
                                        ; implicit-def: $vgpr21
.LBB4_608:                              ;   in Loop: Header=BB4_539 Depth=2
	s_andn2_saveexec_b64 s[54:55], s[54:55]
; %bb.609:                              ;   in Loop: Header=BB4_539 Depth=2
	v_cmp_lt_i16_e64 s[18:19], -1, v2
	v_cndmask_b32_e64 v3, v7, v10, s[18:19]
	v_cmp_eq_u32_e64 s[18:19], 0, v21
	v_cndmask_b32_e64 v3, v11, v3, s[18:19]
; %bb.610:                              ;   in Loop: Header=BB4_539 Depth=2
	s_or_b64 exec, exec, s[54:55]
.LBB4_611:                              ;   in Loop: Header=BB4_539 Depth=2
	s_or_b64 exec, exec, s[52:53]
.LBB4_612:                              ;   in Loop: Header=BB4_539 Depth=2
	s_or_b64 exec, exec, s[50:51]
	v_cmp_ne_u16_e64 s[18:19], 0, v28
	s_and_saveexec_b64 s[50:51], s[18:19]
	s_cbranch_execz .LBB4_620
; %bb.613:                              ;   in Loop: Header=BB4_539 Depth=2
	v_cmp_ne_u16_e64 s[18:19], s68, v28
	v_bfrev_b32_e32 v9, 1
	s_and_saveexec_b64 s[52:53], s[18:19]
	s_cbranch_execz .LBB4_619
; %bb.614:                              ;   in Loop: Header=BB4_539 Depth=2
	v_and_b32_e32 v9, 0x7c, v28
	v_and_b32_e32 v21, 3, v28
	v_cmp_ne_u32_e64 s[18:19], s66, v9
                                        ; implicit-def: $vgpr9
	s_and_saveexec_b64 s[54:55], s[18:19]
	s_xor_b64 s[54:55], exec, s[54:55]
	s_cbranch_execz .LBB4_616
; %bb.615:                              ;   in Loop: Header=BB4_539 Depth=2
	v_ffbh_u32_e32 v23, v21
	v_bfe_u32 v9, v28, 2, 5
	v_min_u32_e32 v23, 32, v23
	v_mov_b32_e32 v29, v55
	v_subrev_u32_e32 v24, 29, v23
	v_sub_u32_e32 v23, 30, v23
	v_cmp_eq_u32_e64 s[18:19], 0, v9
	v_lshlrev_b64 v[24:25], v24, v[28:29]
	v_cndmask_b32_e64 v9, v9, v23, s[18:19]
	v_and_b32_e32 v24, 3, v24
	v_lshlrev_b32_e32 v23, 16, v54
	v_lshl_add_u32 v9, v9, 23, v47
	v_cndmask_b32_e64 v21, v21, v24, s[18:19]
	v_and_or_b32 v9, v23, s67, v9
	v_lshl_or_b32 v9, v21, 21, v9
                                        ; implicit-def: $vgpr21
.LBB4_616:                              ;   in Loop: Header=BB4_539 Depth=2
	s_andn2_saveexec_b64 s[54:55], s[54:55]
; %bb.617:                              ;   in Loop: Header=BB4_539 Depth=2
	v_cmp_lt_i16_e64 s[18:19], -1, v54
	v_cndmask_b32_e64 v9, v7, v10, s[18:19]
	v_cmp_eq_u32_e64 s[18:19], 0, v21
	v_cndmask_b32_e64 v9, v11, v9, s[18:19]
; %bb.618:                              ;   in Loop: Header=BB4_539 Depth=2
	s_or_b64 exec, exec, s[54:55]
.LBB4_619:                              ;   in Loop: Header=BB4_539 Depth=2
	s_or_b64 exec, exec, s[52:53]
.LBB4_620:                              ;   in Loop: Header=BB4_539 Depth=2
	s_or_b64 exec, exec, s[50:51]
	v_max_f32_e32 v9, v9, v9
	v_max_f32_e32 v3, v3, v3
	v_max_f32_e32 v21, v3, v9
                                        ; implicit-def: $vgpr28
                                        ; implicit-def: $vgpr24
.LBB4_621:                              ;   in Loop: Header=BB4_539 Depth=2
	s_andn2_saveexec_b64 s[18:19], s[48:49]
	s_cbranch_execz .LBB4_639
; %bb.622:                              ;   in Loop: Header=BB4_539 Depth=2
	v_mov_b32_e32 v9, 0
	v_mov_b32_e32 v3, 0
	s_and_saveexec_b64 s[48:49], vcc
	s_cbranch_execz .LBB4_630
; %bb.623:                              ;   in Loop: Header=BB4_539 Depth=2
	v_cmp_ne_u16_e32 vcc, s68, v24
	v_bfrev_b32_e32 v3, 1
	s_and_saveexec_b64 s[50:51], vcc
	s_cbranch_execz .LBB4_629
; %bb.624:                              ;   in Loop: Header=BB4_539 Depth=2
	v_and_b32_e32 v3, 0x7c, v24
	v_and_b32_e32 v21, 3, v24
	v_cmp_ne_u32_e32 vcc, s66, v3
                                        ; implicit-def: $vgpr3
	s_and_saveexec_b64 s[52:53], vcc
	s_xor_b64 s[52:53], exec, s[52:53]
	s_cbranch_execz .LBB4_626
; %bb.625:                              ;   in Loop: Header=BB4_539 Depth=2
	v_ffbh_u32_e32 v23, v21
	v_bfe_u32 v3, v24, 2, 5
	v_min_u32_e32 v23, 32, v23
	v_mov_b32_e32 v25, v55
	v_subrev_u32_e32 v27, 29, v23
	v_sub_u32_e32 v23, 30, v23
	v_cmp_eq_u32_e32 vcc, 0, v3
	v_lshlrev_b64 v[24:25], v27, v[24:25]
	v_cndmask_b32_e32 v3, v3, v23, vcc
	v_and_b32_e32 v24, 3, v24
	v_lshlrev_b32_e32 v23, 16, v2
	v_lshl_add_u32 v3, v3, 23, v47
	v_cndmask_b32_e32 v21, v21, v24, vcc
	v_and_or_b32 v3, v23, s67, v3
	v_lshl_or_b32 v3, v21, 21, v3
                                        ; implicit-def: $vgpr21
.LBB4_626:                              ;   in Loop: Header=BB4_539 Depth=2
	s_andn2_saveexec_b64 s[52:53], s[52:53]
; %bb.627:                              ;   in Loop: Header=BB4_539 Depth=2
	v_cmp_lt_i16_e32 vcc, -1, v2
	v_cndmask_b32_e32 v3, v7, v10, vcc
	v_cmp_eq_u32_e32 vcc, 0, v21
	v_cndmask_b32_e32 v3, v11, v3, vcc
; %bb.628:                              ;   in Loop: Header=BB4_539 Depth=2
	s_or_b64 exec, exec, s[52:53]
.LBB4_629:                              ;   in Loop: Header=BB4_539 Depth=2
	s_or_b64 exec, exec, s[50:51]
.LBB4_630:                              ;   in Loop: Header=BB4_539 Depth=2
	s_or_b64 exec, exec, s[48:49]
	v_cmp_ne_u16_e32 vcc, 0, v28
	s_and_saveexec_b64 s[48:49], vcc
	s_cbranch_execz .LBB4_638
; %bb.631:                              ;   in Loop: Header=BB4_539 Depth=2
	v_cmp_ne_u16_e32 vcc, s68, v28
	v_bfrev_b32_e32 v9, 1
	s_and_saveexec_b64 s[50:51], vcc
	s_cbranch_execz .LBB4_637
; %bb.632:                              ;   in Loop: Header=BB4_539 Depth=2
	v_and_b32_e32 v9, 0x7c, v28
	v_and_b32_e32 v21, 3, v28
	v_cmp_ne_u32_e32 vcc, s66, v9
                                        ; implicit-def: $vgpr9
	s_and_saveexec_b64 s[52:53], vcc
	s_xor_b64 s[52:53], exec, s[52:53]
	s_cbranch_execz .LBB4_634
; %bb.633:                              ;   in Loop: Header=BB4_539 Depth=2
	v_ffbh_u32_e32 v23, v21
	v_bfe_u32 v9, v28, 2, 5
	v_min_u32_e32 v23, 32, v23
	v_mov_b32_e32 v29, v55
	v_subrev_u32_e32 v24, 29, v23
	v_sub_u32_e32 v23, 30, v23
	v_cmp_eq_u32_e32 vcc, 0, v9
	v_lshlrev_b64 v[24:25], v24, v[28:29]
	v_cndmask_b32_e32 v9, v9, v23, vcc
	v_and_b32_e32 v24, 3, v24
	v_lshlrev_b32_e32 v23, 16, v54
	v_lshl_add_u32 v9, v9, 23, v47
	v_cndmask_b32_e32 v21, v21, v24, vcc
	v_and_or_b32 v9, v23, s67, v9
	v_lshl_or_b32 v9, v21, 21, v9
                                        ; implicit-def: $vgpr21
.LBB4_634:                              ;   in Loop: Header=BB4_539 Depth=2
	s_andn2_saveexec_b64 s[52:53], s[52:53]
; %bb.635:                              ;   in Loop: Header=BB4_539 Depth=2
	v_cmp_lt_i16_e32 vcc, -1, v54
	v_cndmask_b32_e32 v9, v7, v10, vcc
	v_cmp_eq_u32_e32 vcc, 0, v21
	v_cndmask_b32_e32 v9, v11, v9, vcc
; %bb.636:                              ;   in Loop: Header=BB4_539 Depth=2
	s_or_b64 exec, exec, s[52:53]
.LBB4_637:                              ;   in Loop: Header=BB4_539 Depth=2
	s_or_b64 exec, exec, s[50:51]
.LBB4_638:                              ;   in Loop: Header=BB4_539 Depth=2
	s_or_b64 exec, exec, s[48:49]
	v_max_f32_e32 v9, v9, v9
	v_max_f32_e32 v3, v3, v3
	v_min_f32_e32 v21, v3, v9
.LBB4_639:                              ;   in Loop: Header=BB4_539 Depth=2
	s_or_b64 exec, exec, s[18:19]
	v_and_b32_sdwa v3, v21, s68 dst_sel:DWORD dst_unused:UNUSED_PAD src0_sel:BYTE_3 src1_sel:DWORD
	v_and_b32_e32 v28, 0x7f800000, v21
	v_mov_b32_e32 v29, v55
	v_and_b32_e32 v24, 0x7fffff, v21
	v_mov_b32_e32 v25, v55
	v_or_b32_e32 v9, 0x7b, v3
	v_cmp_ne_u64_e32 vcc, s[40:41], v[28:29]
	s_and_saveexec_b64 s[18:19], vcc
	s_xor_b64 s[48:49], exec, s[18:19]
	s_cbranch_execz .LBB4_649
; %bb.640:                              ;   in Loop: Header=BB4_539 Depth=2
	v_and_b32_e32 v28, 0x7fffffff, v21
	v_mov_b32_e32 v29, v55
	v_cmp_gt_u64_e32 vcc, s[42:43], v[28:29]
	s_and_saveexec_b64 s[50:51], vcc
	s_cbranch_execz .LBB4_648
; %bb.641:                              ;   in Loop: Header=BB4_539 Depth=2
	v_cmp_ne_u32_e32 vcc, 0, v21
	v_mov_b32_e32 v9, 0
	s_and_saveexec_b64 s[52:53], vcc
	s_cbranch_execz .LBB4_647
; %bb.642:                              ;   in Loop: Header=BB4_539 Depth=2
	v_bfe_u32 v9, v21, 23, 8
	v_sub_u32_e32 v23, 0x71, v9
	v_cmp_gt_u32_e32 vcc, s69, v9
	v_add_u32_e32 v21, 0xffffff81, v9
	v_cndmask_b32_e32 v23, 0, v23, vcc
	v_cmp_eq_u32_e32 vcc, 0, v9
	v_cndmask_b32_e32 v9, v21, v30, vcc
	v_cndmask_b32_e32 v21, v23, v48, vcc
	v_add_u32_e32 v23, 21, v21
	v_or_b32_e32 v27, 0x800000, v24
	v_lshlrev_b64 v[28:29], v23, -1
	v_cndmask_b32_e32 v24, v27, v24, vcc
	v_not_b32_e32 v23, v29
	v_not_b32_e32 v27, v28
	v_and_b32_e32 v29, 0, v23
	v_and_b32_e32 v28, v24, v27
	v_add_u32_e32 v23, 20, v21
	v_lshrrev_b64 v[24:25], v21, v[24:25]
	v_lshlrev_b64 v[36:37], v23, 1
	v_lshrrev_b32_e32 v23, 23, v24
	v_add3_u32 v23, v21, v9, v23
	v_bfe_u32 v9, v24, 21, 1
	v_add_u32_e32 v9, -1, v9
	v_cmp_eq_u64_e32 vcc, v[28:29], v[36:37]
	v_cndmask_b32_e32 v9, 0, v9, vcc
	v_add_u32_e32 v9, v9, v24
	v_and_b32_e32 v9, 0x1fffff, v9
	v_add_co_u32_e32 v24, vcc, v9, v24
	v_add_u32_e32 v21, 14, v23
	v_addc_co_u32_e32 v25, vcc, 0, v25, vcc
	v_cmp_ne_u32_e32 vcc, 0, v21
                                        ; implicit-def: $vgpr9
	s_and_saveexec_b64 s[18:19], vcc
	s_xor_b64 s[18:19], exec, s[18:19]
; %bb.643:                              ;   in Loop: Header=BB4_539 Depth=2
	v_add_u32_e32 v9, 15, v23
	v_cmp_lt_u64_e32 vcc, s[44:45], v[24:25]
	v_cndmask_b32_e32 v9, v21, v9, vcc
	v_cndmask_b32_e64 v21, 0, 1, vcc
	v_lshrrev_b64 v[24:25], v21, v[24:25]
; %bb.644:                              ;   in Loop: Header=BB4_539 Depth=2
	s_andn2_saveexec_b64 s[18:19], s[18:19]
; %bb.645:                              ;   in Loop: Header=BB4_539 Depth=2
	v_bfe_u32 v9, v24, 23, 1
; %bb.646:                              ;   in Loop: Header=BB4_539 Depth=2
	s_or_b64 exec, exec, s[18:19]
	v_lshrrev_b64 v[24:25], 21, v[24:25]
	v_cmp_gt_i32_e32 vcc, 32, v9
	v_cndmask_b32_e32 v25, 0, v25, vcc
	v_cndmask_b32_e32 v24, 3, v24, vcc
	v_cmp_eq_u32_e32 vcc, 0, v9
	v_min_i32_e32 v9, 31, v9
	v_cmp_eq_u64_e64 s[18:19], 0, v[24:25]
	v_lshlrev_b32_e32 v9, 2, v9
	v_and_or_b32 v9, v24, 3, v9
	s_and_b64 s[18:19], vcc, s[18:19]
	v_cndmask_b32_e64 v9, v9, 0, s[18:19]
	v_or_b32_e32 v9, v9, v3
.LBB4_647:                              ;   in Loop: Header=BB4_539 Depth=2
	s_or_b64 exec, exec, s[52:53]
.LBB4_648:                              ;   in Loop: Header=BB4_539 Depth=2
	s_or_b64 exec, exec, s[50:51]
                                        ; implicit-def: $vgpr21
                                        ; implicit-def: $vgpr24_vgpr25
.LBB4_649:                              ;   in Loop: Header=BB4_539 Depth=2
	s_andn2_saveexec_b64 s[18:19], s[48:49]
; %bb.650:                              ;   in Loop: Header=BB4_539 Depth=2
	v_or_b32_sdwa v3, v21, s70 dst_sel:DWORD dst_unused:UNUSED_PAD src0_sel:BYTE_3 src1_sel:DWORD
	v_cmp_eq_u64_e32 vcc, 0, v[24:25]
	v_cndmask_b32_e32 v9, v3, v9, vcc
; %bb.651:                              ;   in Loop: Header=BB4_539 Depth=2
	s_or_b64 exec, exec, s[18:19]
	v_lshrrev_b32_e32 v40, 16, v2
	v_lshrrev_b32_e32 v28, 16, v54
	v_cmp_ne_u16_sdwa s[18:19], v40, v55 src0_sel:BYTE_0 src1_sel:DWORD
                                        ; implicit-def: $vgpr23
	s_and_saveexec_b64 vcc, s[14:15]
	s_xor_b64 s[48:49], exec, vcc
	s_cbranch_execz .LBB4_669
; %bb.652:                              ;   in Loop: Header=BB4_539 Depth=2
	v_mov_b32_e32 v21, 0
	v_mov_b32_e32 v3, 0
	s_and_saveexec_b64 s[50:51], s[18:19]
	s_cbranch_execz .LBB4_660
; %bb.653:                              ;   in Loop: Header=BB4_539 Depth=2
	v_cmp_ne_u16_sdwa vcc, v40, s68 src0_sel:BYTE_0 src1_sel:DWORD
	v_bfrev_b32_e32 v3, 1
	s_and_saveexec_b64 s[52:53], vcc
	s_cbranch_execz .LBB4_659
; %bb.654:                              ;   in Loop: Header=BB4_539 Depth=2
	v_and_b32_e32 v3, 0x7c0000, v2
	v_bfe_u32 v23, v2, 16, 2
	v_cmp_ne_u32_e32 vcc, s71, v3
                                        ; implicit-def: $vgpr3
	s_and_saveexec_b64 s[54:55], vcc
	s_xor_b64 s[54:55], exec, s[54:55]
	s_cbranch_execz .LBB4_656
; %bb.655:                              ;   in Loop: Header=BB4_539 Depth=2
	v_ffbh_u32_e32 v24, v23
	v_min_u32_e32 v27, 32, v24
	v_subrev_u32_e32 v24, 29, v27
	v_bfe_u32 v3, v2, 18, 5
	v_lshlrev_b64 v[24:25], v24, v[40:41]
	v_sub_u32_e32 v25, 30, v27
	v_cmp_eq_u32_e32 vcc, 0, v3
	v_and_b32_e32 v24, 3, v24
	v_cndmask_b32_e32 v3, v3, v25, vcc
	v_cndmask_b32_e32 v23, v23, v24, vcc
	v_lshlrev_b32_e32 v24, 24, v40
	v_lshl_add_u32 v3, v3, 23, v47
	v_and_or_b32 v3, v24, s67, v3
	v_lshl_or_b32 v3, v23, 21, v3
                                        ; implicit-def: $vgpr23
                                        ; implicit-def: $vgpr40
.LBB4_656:                              ;   in Loop: Header=BB4_539 Depth=2
	s_andn2_saveexec_b64 s[54:55], s[54:55]
; %bb.657:                              ;   in Loop: Header=BB4_539 Depth=2
	v_cmp_gt_i16_sdwa vcc, sext(v40), v6 src0_sel:BYTE_0 src1_sel:DWORD
	v_cndmask_b32_e32 v3, v7, v10, vcc
	v_cmp_eq_u32_e32 vcc, 0, v23
	v_cndmask_b32_e32 v3, v11, v3, vcc
; %bb.658:                              ;   in Loop: Header=BB4_539 Depth=2
	s_or_b64 exec, exec, s[54:55]
.LBB4_659:                              ;   in Loop: Header=BB4_539 Depth=2
	s_or_b64 exec, exec, s[52:53]
.LBB4_660:                              ;   in Loop: Header=BB4_539 Depth=2
	s_or_b64 exec, exec, s[50:51]
	v_and_b32_sdwa v24, v54, s64 dst_sel:DWORD dst_unused:UNUSED_PAD src0_sel:WORD_1 src1_sel:DWORD
	v_lshrrev_b32_e32 v23, 16, v54
	v_cmp_ne_u16_e32 vcc, 0, v24
	s_and_saveexec_b64 s[50:51], vcc
	s_cbranch_execz .LBB4_668
; %bb.661:                              ;   in Loop: Header=BB4_539 Depth=2
	v_cmp_ne_u16_e32 vcc, s68, v24
	v_bfrev_b32_e32 v21, 1
	s_and_saveexec_b64 s[52:53], vcc
	s_cbranch_execz .LBB4_667
; %bb.662:                              ;   in Loop: Header=BB4_539 Depth=2
	v_and_b32_e32 v21, 0x7c0000, v54
	v_bfe_u32 v24, v54, 16, 2
	v_cmp_ne_u32_e32 vcc, s71, v21
                                        ; implicit-def: $vgpr21
	s_and_saveexec_b64 s[54:55], vcc
	s_xor_b64 s[54:55], exec, s[54:55]
	s_cbranch_execz .LBB4_664
; %bb.663:                              ;   in Loop: Header=BB4_539 Depth=2
	v_ffbh_u32_e32 v23, v24
	v_min_u32_e32 v23, 32, v23
	v_bfe_u32 v21, v54, 18, 5
	v_subrev_u32_e32 v25, 29, v23
	v_lshlrev_b64 v[36:37], v25, v[28:29]
	v_sub_u32_e32 v23, 30, v23
	v_cmp_eq_u32_e32 vcc, 0, v21
	v_and_b32_e32 v25, 3, v36
	v_cndmask_b32_e32 v21, v21, v23, vcc
	v_cndmask_b32_e32 v23, v24, v25, vcc
	v_lshlrev_b32_e32 v24, 24, v28
	v_lshl_add_u32 v21, v21, 23, v47
	v_and_or_b32 v21, v24, s67, v21
	v_lshl_or_b32 v21, v23, 21, v21
                                        ; implicit-def: $vgpr24
                                        ; implicit-def: $vgpr23
.LBB4_664:                              ;   in Loop: Header=BB4_539 Depth=2
	s_andn2_saveexec_b64 s[54:55], s[54:55]
; %bb.665:                              ;   in Loop: Header=BB4_539 Depth=2
	v_cmp_gt_i16_sdwa vcc, sext(v23), v6 src0_sel:BYTE_0 src1_sel:DWORD
	v_cndmask_b32_e32 v21, v7, v10, vcc
	v_cmp_eq_u32_e32 vcc, 0, v24
	v_cndmask_b32_e32 v21, v11, v21, vcc
; %bb.666:                              ;   in Loop: Header=BB4_539 Depth=2
	s_or_b64 exec, exec, s[54:55]
.LBB4_667:                              ;   in Loop: Header=BB4_539 Depth=2
	s_or_b64 exec, exec, s[52:53]
.LBB4_668:                              ;   in Loop: Header=BB4_539 Depth=2
	s_or_b64 exec, exec, s[50:51]
	v_max_f32_e32 v21, v21, v21
	v_max_f32_e32 v3, v3, v3
	;; [unrolled: 1-line block ×3, first 2 shown]
                                        ; implicit-def: $vgpr40
                                        ; implicit-def: $vgpr28
.LBB4_669:                              ;   in Loop: Header=BB4_539 Depth=2
	s_andn2_saveexec_b64 s[48:49], s[48:49]
	s_cbranch_execz .LBB4_687
; %bb.670:                              ;   in Loop: Header=BB4_539 Depth=2
	v_mov_b32_e32 v21, 0
	v_mov_b32_e32 v3, 0
	s_and_saveexec_b64 s[50:51], s[18:19]
	s_cbranch_execz .LBB4_678
; %bb.671:                              ;   in Loop: Header=BB4_539 Depth=2
	v_cmp_ne_u16_sdwa vcc, v40, s68 src0_sel:BYTE_0 src1_sel:DWORD
	v_bfrev_b32_e32 v3, 1
	s_and_saveexec_b64 s[18:19], vcc
	s_cbranch_execz .LBB4_677
; %bb.672:                              ;   in Loop: Header=BB4_539 Depth=2
	v_and_b32_e32 v3, 0x7c0000, v2
	v_bfe_u32 v23, v2, 16, 2
	v_cmp_ne_u32_e32 vcc, s71, v3
                                        ; implicit-def: $vgpr3
	s_and_saveexec_b64 s[52:53], vcc
	s_xor_b64 s[52:53], exec, s[52:53]
	s_cbranch_execz .LBB4_674
; %bb.673:                              ;   in Loop: Header=BB4_539 Depth=2
	v_ffbh_u32_e32 v24, v23
	v_min_u32_e32 v27, 32, v24
	v_subrev_u32_e32 v24, 29, v27
	v_bfe_u32 v3, v2, 18, 5
	v_lshlrev_b64 v[24:25], v24, v[40:41]
	v_sub_u32_e32 v25, 30, v27
	v_cmp_eq_u32_e32 vcc, 0, v3
	v_and_b32_e32 v24, 3, v24
	v_cndmask_b32_e32 v3, v3, v25, vcc
	v_cndmask_b32_e32 v23, v23, v24, vcc
	v_lshlrev_b32_e32 v24, 24, v40
	v_lshl_add_u32 v3, v3, 23, v47
	v_and_or_b32 v3, v24, s67, v3
	v_lshl_or_b32 v3, v23, 21, v3
                                        ; implicit-def: $vgpr23
                                        ; implicit-def: $vgpr40
.LBB4_674:                              ;   in Loop: Header=BB4_539 Depth=2
	s_andn2_saveexec_b64 s[52:53], s[52:53]
; %bb.675:                              ;   in Loop: Header=BB4_539 Depth=2
	v_cmp_gt_i16_sdwa vcc, sext(v40), v6 src0_sel:BYTE_0 src1_sel:DWORD
	v_cndmask_b32_e32 v3, v7, v10, vcc
	v_cmp_eq_u32_e32 vcc, 0, v23
	v_cndmask_b32_e32 v3, v11, v3, vcc
; %bb.676:                              ;   in Loop: Header=BB4_539 Depth=2
	s_or_b64 exec, exec, s[52:53]
.LBB4_677:                              ;   in Loop: Header=BB4_539 Depth=2
	s_or_b64 exec, exec, s[18:19]
.LBB4_678:                              ;   in Loop: Header=BB4_539 Depth=2
	s_or_b64 exec, exec, s[50:51]
	v_and_b32_sdwa v24, v54, s64 dst_sel:DWORD dst_unused:UNUSED_PAD src0_sel:WORD_1 src1_sel:DWORD
	v_lshrrev_b32_e32 v23, 16, v54
	v_cmp_ne_u16_e32 vcc, 0, v24
	s_and_saveexec_b64 s[18:19], vcc
	s_cbranch_execz .LBB4_686
; %bb.679:                              ;   in Loop: Header=BB4_539 Depth=2
	v_cmp_ne_u16_e32 vcc, s68, v24
	v_bfrev_b32_e32 v21, 1
	s_and_saveexec_b64 s[50:51], vcc
	s_cbranch_execz .LBB4_685
; %bb.680:                              ;   in Loop: Header=BB4_539 Depth=2
	v_and_b32_e32 v21, 0x7c0000, v54
	v_bfe_u32 v24, v54, 16, 2
	v_cmp_ne_u32_e32 vcc, s71, v21
                                        ; implicit-def: $vgpr21
	s_and_saveexec_b64 s[52:53], vcc
	s_xor_b64 s[52:53], exec, s[52:53]
	s_cbranch_execz .LBB4_682
; %bb.681:                              ;   in Loop: Header=BB4_539 Depth=2
	v_ffbh_u32_e32 v23, v24
	v_min_u32_e32 v23, 32, v23
	v_bfe_u32 v21, v54, 18, 5
	v_subrev_u32_e32 v25, 29, v23
	v_lshlrev_b64 v[36:37], v25, v[28:29]
	v_sub_u32_e32 v23, 30, v23
	v_cmp_eq_u32_e32 vcc, 0, v21
	v_and_b32_e32 v25, 3, v36
	v_cndmask_b32_e32 v21, v21, v23, vcc
	v_cndmask_b32_e32 v23, v24, v25, vcc
	v_lshlrev_b32_e32 v24, 24, v28
	v_lshl_add_u32 v21, v21, 23, v47
	v_and_or_b32 v21, v24, s67, v21
	v_lshl_or_b32 v21, v23, 21, v21
                                        ; implicit-def: $vgpr24
                                        ; implicit-def: $vgpr23
.LBB4_682:                              ;   in Loop: Header=BB4_539 Depth=2
	s_andn2_saveexec_b64 s[52:53], s[52:53]
; %bb.683:                              ;   in Loop: Header=BB4_539 Depth=2
	v_cmp_gt_i16_sdwa vcc, sext(v23), v6 src0_sel:BYTE_0 src1_sel:DWORD
	v_cndmask_b32_e32 v21, v7, v10, vcc
	v_cmp_eq_u32_e32 vcc, 0, v24
	v_cndmask_b32_e32 v21, v11, v21, vcc
; %bb.684:                              ;   in Loop: Header=BB4_539 Depth=2
	s_or_b64 exec, exec, s[52:53]
.LBB4_685:                              ;   in Loop: Header=BB4_539 Depth=2
	s_or_b64 exec, exec, s[50:51]
.LBB4_686:                              ;   in Loop: Header=BB4_539 Depth=2
	s_or_b64 exec, exec, s[18:19]
	v_max_f32_e32 v21, v21, v21
	v_max_f32_e32 v3, v3, v3
	v_min_f32_e32 v23, v3, v21
.LBB4_687:                              ;   in Loop: Header=BB4_539 Depth=2
	s_or_b64 exec, exec, s[48:49]
	v_and_b32_sdwa v3, v23, s68 dst_sel:DWORD dst_unused:UNUSED_PAD src0_sel:BYTE_3 src1_sel:DWORD
	v_and_b32_e32 v28, 0x7f800000, v23
	v_mov_b32_e32 v29, v55
	v_and_b32_e32 v24, 0x7fffff, v23
	v_mov_b32_e32 v25, v55
	v_or_b32_e32 v21, 0x7b, v3
	v_cmp_ne_u64_e32 vcc, s[40:41], v[28:29]
	s_and_saveexec_b64 s[18:19], vcc
	s_xor_b64 s[48:49], exec, s[18:19]
	s_cbranch_execz .LBB4_697
; %bb.688:                              ;   in Loop: Header=BB4_539 Depth=2
	v_and_b32_e32 v28, 0x7fffffff, v23
	v_mov_b32_e32 v29, v55
	v_cmp_gt_u64_e32 vcc, s[42:43], v[28:29]
	s_and_saveexec_b64 s[50:51], vcc
	s_cbranch_execz .LBB4_696
; %bb.689:                              ;   in Loop: Header=BB4_539 Depth=2
	v_cmp_ne_u32_e32 vcc, 0, v23
	v_mov_b32_e32 v21, 0
	s_and_saveexec_b64 s[52:53], vcc
	s_cbranch_execz .LBB4_695
; %bb.690:                              ;   in Loop: Header=BB4_539 Depth=2
	v_bfe_u32 v21, v23, 23, 8
	v_sub_u32_e32 v27, 0x71, v21
	v_cmp_gt_u32_e32 vcc, s69, v21
	v_add_u32_e32 v23, 0xffffff81, v21
	v_cndmask_b32_e32 v27, 0, v27, vcc
	v_cmp_eq_u32_e32 vcc, 0, v21
	v_cndmask_b32_e32 v21, v23, v30, vcc
	v_cndmask_b32_e32 v23, v27, v48, vcc
	v_or_b32_e32 v28, 0x800000, v24
	v_add_u32_e32 v27, 21, v23
	v_cndmask_b32_e32 v24, v28, v24, vcc
	v_lshlrev_b64 v[28:29], v27, -1
	v_not_b32_e32 v27, v29
	v_not_b32_e32 v28, v28
	v_and_b32_e32 v29, 0, v27
	v_and_b32_e32 v28, v24, v28
	v_add_u32_e32 v27, 20, v23
	v_lshrrev_b64 v[24:25], v23, v[24:25]
	v_lshlrev_b64 v[36:37], v27, 1
	v_lshrrev_b32_e32 v27, 23, v24
	v_add3_u32 v27, v23, v21, v27
	v_bfe_u32 v21, v24, 21, 1
	v_add_u32_e32 v21, -1, v21
	v_cmp_eq_u64_e32 vcc, v[28:29], v[36:37]
	v_cndmask_b32_e32 v21, 0, v21, vcc
	v_add_u32_e32 v21, v21, v24
	v_and_b32_e32 v21, 0x1fffff, v21
	v_add_co_u32_e32 v24, vcc, v21, v24
	v_add_u32_e32 v23, 14, v27
	v_addc_co_u32_e32 v25, vcc, 0, v25, vcc
	v_cmp_ne_u32_e32 vcc, 0, v23
                                        ; implicit-def: $vgpr21
	s_and_saveexec_b64 s[18:19], vcc
	s_xor_b64 s[18:19], exec, s[18:19]
; %bb.691:                              ;   in Loop: Header=BB4_539 Depth=2
	v_add_u32_e32 v21, 15, v27
	v_cmp_lt_u64_e32 vcc, s[44:45], v[24:25]
	v_cndmask_b32_e32 v21, v23, v21, vcc
	v_cndmask_b32_e64 v23, 0, 1, vcc
	v_lshrrev_b64 v[24:25], v23, v[24:25]
; %bb.692:                              ;   in Loop: Header=BB4_539 Depth=2
	s_andn2_saveexec_b64 s[18:19], s[18:19]
; %bb.693:                              ;   in Loop: Header=BB4_539 Depth=2
	v_bfe_u32 v21, v24, 23, 1
; %bb.694:                              ;   in Loop: Header=BB4_539 Depth=2
	s_or_b64 exec, exec, s[18:19]
	v_lshrrev_b64 v[24:25], 21, v[24:25]
	v_cmp_gt_i32_e32 vcc, 32, v21
	v_cndmask_b32_e32 v25, 0, v25, vcc
	v_cndmask_b32_e32 v24, 3, v24, vcc
	v_cmp_eq_u32_e32 vcc, 0, v21
	v_min_i32_e32 v21, 31, v21
	v_cmp_eq_u64_e64 s[18:19], 0, v[24:25]
	v_lshlrev_b32_e32 v21, 2, v21
	v_and_or_b32 v21, v24, 3, v21
	s_and_b64 s[18:19], vcc, s[18:19]
	v_cndmask_b32_e64 v21, v21, 0, s[18:19]
	v_or_b32_e32 v21, v21, v3
.LBB4_695:                              ;   in Loop: Header=BB4_539 Depth=2
	s_or_b64 exec, exec, s[52:53]
.LBB4_696:                              ;   in Loop: Header=BB4_539 Depth=2
	s_or_b64 exec, exec, s[50:51]
                                        ; implicit-def: $vgpr23
                                        ; implicit-def: $vgpr24_vgpr25
.LBB4_697:                              ;   in Loop: Header=BB4_539 Depth=2
	s_andn2_saveexec_b64 s[18:19], s[48:49]
; %bb.698:                              ;   in Loop: Header=BB4_539 Depth=2
	v_or_b32_sdwa v3, v23, s70 dst_sel:DWORD dst_unused:UNUSED_PAD src0_sel:BYTE_3 src1_sel:DWORD
	v_cmp_eq_u64_e32 vcc, 0, v[24:25]
	v_cndmask_b32_e32 v21, v3, v21, vcc
; %bb.699:                              ;   in Loop: Header=BB4_539 Depth=2
	s_or_b64 exec, exec, s[18:19]
	v_lshrrev_b32_e32 v24, 24, v2
	v_lshrrev_b32_e32 v28, 24, v54
	v_cmp_lt_u32_e32 vcc, s39, v2
                                        ; implicit-def: $vgpr3
	s_and_saveexec_b64 s[18:19], s[14:15]
	s_xor_b64 s[48:49], exec, s[18:19]
	s_cbranch_execz .LBB4_717
; %bb.700:                              ;   in Loop: Header=BB4_539 Depth=2
	v_mov_b32_e32 v23, 0
	v_mov_b32_e32 v3, 0
	s_and_saveexec_b64 s[50:51], vcc
	s_cbranch_execz .LBB4_708
; %bb.701:                              ;   in Loop: Header=BB4_539 Depth=2
	v_cmp_ne_u32_e64 s[18:19], s68, v24
	v_bfrev_b32_e32 v3, 1
	s_and_saveexec_b64 s[52:53], s[18:19]
	s_cbranch_execz .LBB4_707
; %bb.702:                              ;   in Loop: Header=BB4_539 Depth=2
	v_and_b32_e32 v3, 0x7c000000, v2
	v_bfe_u32 v25, v2, 24, 2
	v_cmp_ne_u32_e64 s[18:19], s72, v3
                                        ; implicit-def: $vgpr3
	s_and_saveexec_b64 s[54:55], s[18:19]
	s_xor_b64 s[54:55], exec, s[54:55]
	s_cbranch_execz .LBB4_704
; %bb.703:                              ;   in Loop: Header=BB4_539 Depth=2
	v_ffbh_u32_e32 v27, v25
	v_min_u32_e32 v27, 32, v27
	v_bfe_u32 v3, v2, 26, 5
	v_subrev_u32_e32 v29, 29, v27
	v_lshlrev_b64 v[36:37], v29, v[24:25]
	v_sub_u32_e32 v24, 30, v27
	v_cmp_eq_u32_e64 s[18:19], 0, v3
	v_cndmask_b32_e64 v3, v3, v24, s[18:19]
	v_and_b32_e32 v27, 3, v36
	v_lshl_add_u32 v3, v3, 23, v47
	v_cndmask_b32_e64 v24, v25, v27, s[18:19]
	v_and_or_b32 v2, v2, s67, v3
	v_lshl_or_b32 v3, v24, 21, v2
                                        ; implicit-def: $vgpr25
.LBB4_704:                              ;   in Loop: Header=BB4_539 Depth=2
	s_andn2_saveexec_b64 s[54:55], s[54:55]
; %bb.705:                              ;   in Loop: Header=BB4_539 Depth=2
	v_cmp_lt_i32_e64 s[18:19], -1, v2
	v_cndmask_b32_e64 v2, v7, v10, s[18:19]
	v_cmp_eq_u32_e64 s[18:19], 0, v25
	v_cndmask_b32_e64 v3, v11, v2, s[18:19]
; %bb.706:                              ;   in Loop: Header=BB4_539 Depth=2
	s_or_b64 exec, exec, s[54:55]
.LBB4_707:                              ;   in Loop: Header=BB4_539 Depth=2
	s_or_b64 exec, exec, s[52:53]
.LBB4_708:                              ;   in Loop: Header=BB4_539 Depth=2
	s_or_b64 exec, exec, s[50:51]
	v_cmp_lt_u32_e64 s[18:19], s39, v54
	s_and_saveexec_b64 s[50:51], s[18:19]
	s_cbranch_execz .LBB4_716
; %bb.709:                              ;   in Loop: Header=BB4_539 Depth=2
	v_cmp_ne_u32_e64 s[18:19], s68, v28
	v_bfrev_b32_e32 v23, 1
	s_and_saveexec_b64 s[52:53], s[18:19]
	s_cbranch_execz .LBB4_715
; %bb.710:                              ;   in Loop: Header=BB4_539 Depth=2
	v_and_b32_e32 v23, 0x7c000000, v54
	v_bfe_u32 v2, v54, 24, 2
	v_cmp_ne_u32_e64 s[18:19], s72, v23
                                        ; implicit-def: $vgpr23
	s_and_saveexec_b64 s[54:55], s[18:19]
	s_xor_b64 s[54:55], exec, s[54:55]
	s_cbranch_execz .LBB4_712
; %bb.711:                              ;   in Loop: Header=BB4_539 Depth=2
	v_ffbh_u32_e32 v24, v2
	v_min_u32_e32 v27, 32, v24
	v_subrev_u32_e32 v24, 29, v27
	v_bfe_u32 v23, v54, 26, 5
	v_lshlrev_b64 v[24:25], v24, v[28:29]
	v_sub_u32_e32 v25, 30, v27
	v_cmp_eq_u32_e64 s[18:19], 0, v23
	v_cndmask_b32_e64 v23, v23, v25, s[18:19]
	v_and_b32_e32 v24, 3, v24
	v_lshl_add_u32 v23, v23, 23, v47
	v_cndmask_b32_e64 v2, v2, v24, s[18:19]
	v_and_or_b32 v23, v54, s67, v23
	v_lshl_or_b32 v23, v2, 21, v23
                                        ; implicit-def: $vgpr2
.LBB4_712:                              ;   in Loop: Header=BB4_539 Depth=2
	s_andn2_saveexec_b64 s[54:55], s[54:55]
; %bb.713:                              ;   in Loop: Header=BB4_539 Depth=2
	v_cmp_lt_i32_e64 s[18:19], -1, v54
	v_cndmask_b32_e64 v23, v7, v10, s[18:19]
	v_cmp_eq_u32_e64 s[18:19], 0, v2
	v_cndmask_b32_e64 v23, v11, v23, s[18:19]
; %bb.714:                              ;   in Loop: Header=BB4_539 Depth=2
	s_or_b64 exec, exec, s[54:55]
.LBB4_715:                              ;   in Loop: Header=BB4_539 Depth=2
	s_or_b64 exec, exec, s[52:53]
.LBB4_716:                              ;   in Loop: Header=BB4_539 Depth=2
	s_or_b64 exec, exec, s[50:51]
	v_max_f32_e32 v2, v23, v23
	v_max_f32_e32 v3, v3, v3
	v_max_f32_e32 v3, v3, v2
                                        ; implicit-def: $vgpr28
                                        ; implicit-def: $vgpr24
.LBB4_717:                              ;   in Loop: Header=BB4_539 Depth=2
	s_andn2_saveexec_b64 s[18:19], s[48:49]
	s_cbranch_execz .LBB4_735
; %bb.718:                              ;   in Loop: Header=BB4_539 Depth=2
	v_mov_b32_e32 v23, 0
	v_mov_b32_e32 v3, 0
	s_and_saveexec_b64 s[48:49], vcc
	s_cbranch_execz .LBB4_726
; %bb.719:                              ;   in Loop: Header=BB4_539 Depth=2
	v_cmp_ne_u32_e32 vcc, s68, v24
	v_bfrev_b32_e32 v3, 1
	s_and_saveexec_b64 s[50:51], vcc
	s_cbranch_execz .LBB4_725
; %bb.720:                              ;   in Loop: Header=BB4_539 Depth=2
	v_and_b32_e32 v3, 0x7c000000, v2
	v_bfe_u32 v25, v2, 24, 2
	v_cmp_ne_u32_e32 vcc, s72, v3
                                        ; implicit-def: $vgpr3
	s_and_saveexec_b64 s[52:53], vcc
	s_xor_b64 s[52:53], exec, s[52:53]
	s_cbranch_execz .LBB4_722
; %bb.721:                              ;   in Loop: Header=BB4_539 Depth=2
	v_ffbh_u32_e32 v27, v25
	v_min_u32_e32 v27, 32, v27
	v_bfe_u32 v3, v2, 26, 5
	v_subrev_u32_e32 v29, 29, v27
	v_lshlrev_b64 v[36:37], v29, v[24:25]
	v_sub_u32_e32 v24, 30, v27
	v_cmp_eq_u32_e32 vcc, 0, v3
	v_cndmask_b32_e32 v3, v3, v24, vcc
	v_and_b32_e32 v27, 3, v36
	v_lshl_add_u32 v3, v3, 23, v47
	v_cndmask_b32_e32 v24, v25, v27, vcc
	v_and_or_b32 v2, v2, s67, v3
	v_lshl_or_b32 v3, v24, 21, v2
                                        ; implicit-def: $vgpr25
.LBB4_722:                              ;   in Loop: Header=BB4_539 Depth=2
	s_andn2_saveexec_b64 s[52:53], s[52:53]
; %bb.723:                              ;   in Loop: Header=BB4_539 Depth=2
	v_cmp_lt_i32_e32 vcc, -1, v2
	v_cndmask_b32_e32 v2, v7, v10, vcc
	v_cmp_eq_u32_e32 vcc, 0, v25
	v_cndmask_b32_e32 v3, v11, v2, vcc
; %bb.724:                              ;   in Loop: Header=BB4_539 Depth=2
	s_or_b64 exec, exec, s[52:53]
.LBB4_725:                              ;   in Loop: Header=BB4_539 Depth=2
	s_or_b64 exec, exec, s[50:51]
.LBB4_726:                              ;   in Loop: Header=BB4_539 Depth=2
	s_or_b64 exec, exec, s[48:49]
	v_cmp_lt_u32_e32 vcc, s39, v54
	s_and_saveexec_b64 s[48:49], vcc
	s_cbranch_execz .LBB4_734
; %bb.727:                              ;   in Loop: Header=BB4_539 Depth=2
	v_cmp_ne_u32_e32 vcc, s68, v28
	v_bfrev_b32_e32 v23, 1
	s_and_saveexec_b64 s[50:51], vcc
	s_cbranch_execz .LBB4_733
; %bb.728:                              ;   in Loop: Header=BB4_539 Depth=2
	v_and_b32_e32 v23, 0x7c000000, v54
	v_bfe_u32 v2, v54, 24, 2
	v_cmp_ne_u32_e32 vcc, s72, v23
                                        ; implicit-def: $vgpr23
	s_and_saveexec_b64 s[52:53], vcc
	s_xor_b64 s[52:53], exec, s[52:53]
	s_cbranch_execz .LBB4_730
; %bb.729:                              ;   in Loop: Header=BB4_539 Depth=2
	v_ffbh_u32_e32 v24, v2
	v_min_u32_e32 v27, 32, v24
	v_subrev_u32_e32 v24, 29, v27
	v_bfe_u32 v23, v54, 26, 5
	v_lshlrev_b64 v[24:25], v24, v[28:29]
	v_sub_u32_e32 v25, 30, v27
	v_cmp_eq_u32_e32 vcc, 0, v23
	v_cndmask_b32_e32 v23, v23, v25, vcc
	v_and_b32_e32 v24, 3, v24
	v_lshl_add_u32 v23, v23, 23, v47
	v_cndmask_b32_e32 v2, v2, v24, vcc
	v_and_or_b32 v23, v54, s67, v23
	v_lshl_or_b32 v23, v2, 21, v23
                                        ; implicit-def: $vgpr2
.LBB4_730:                              ;   in Loop: Header=BB4_539 Depth=2
	s_andn2_saveexec_b64 s[52:53], s[52:53]
; %bb.731:                              ;   in Loop: Header=BB4_539 Depth=2
	v_cmp_lt_i32_e32 vcc, -1, v54
	v_cndmask_b32_e32 v23, v7, v10, vcc
	v_cmp_eq_u32_e32 vcc, 0, v2
	v_cndmask_b32_e32 v23, v11, v23, vcc
; %bb.732:                              ;   in Loop: Header=BB4_539 Depth=2
	s_or_b64 exec, exec, s[52:53]
.LBB4_733:                              ;   in Loop: Header=BB4_539 Depth=2
	s_or_b64 exec, exec, s[50:51]
.LBB4_734:                              ;   in Loop: Header=BB4_539 Depth=2
	s_or_b64 exec, exec, s[48:49]
	v_max_f32_e32 v2, v23, v23
	v_max_f32_e32 v3, v3, v3
	v_min_f32_e32 v3, v3, v2
.LBB4_735:                              ;   in Loop: Header=BB4_539 Depth=2
	s_or_b64 exec, exec, s[18:19]
	v_and_b32_sdwa v23, v3, s68 dst_sel:DWORD dst_unused:UNUSED_PAD src0_sel:BYTE_3 src1_sel:DWORD
	v_and_b32_e32 v24, 0x7f800000, v3
	v_mov_b32_e32 v25, v55
	v_and_b32_e32 v54, 0x7fffff, v3
	v_or_b32_e32 v27, 0x7b, v23
	v_cmp_ne_u64_e32 vcc, s[40:41], v[24:25]
	s_and_saveexec_b64 s[18:19], vcc
	s_xor_b64 s[48:49], exec, s[18:19]
	s_cbranch_execz .LBB4_745
; %bb.736:                              ;   in Loop: Header=BB4_539 Depth=2
	v_and_b32_e32 v24, 0x7fffffff, v3
	v_mov_b32_e32 v25, v55
	v_cmp_gt_u64_e32 vcc, s[42:43], v[24:25]
	s_and_saveexec_b64 s[50:51], vcc
	s_cbranch_execz .LBB4_744
; %bb.737:                              ;   in Loop: Header=BB4_539 Depth=2
	v_cmp_ne_u32_e32 vcc, 0, v3
	v_mov_b32_e32 v27, 0
	s_and_saveexec_b64 s[52:53], vcc
	s_cbranch_execz .LBB4_743
; %bb.738:                              ;   in Loop: Header=BB4_539 Depth=2
	v_bfe_u32 v2, v3, 23, 8
	v_sub_u32_e32 v24, 0x71, v2
	v_cmp_gt_u32_e32 vcc, s69, v2
	v_cndmask_b32_e32 v24, 0, v24, vcc
	v_cmp_eq_u32_e32 vcc, 0, v2
	v_or_b32_e32 v25, 0x800000, v54
	v_cndmask_b32_e32 v24, v24, v48, vcc
	v_add_u32_e32 v3, 0xffffff81, v2
	v_cndmask_b32_e32 v54, v25, v54, vcc
	v_add_u32_e32 v2, 21, v24
	v_cndmask_b32_e32 v27, v3, v30, vcc
	v_lshlrev_b64 v[2:3], v2, -1
	v_add_u32_e32 v25, 20, v24
	v_lshrrev_b64 v[36:37], v24, v[54:55]
	v_not_b32_e32 v3, v3
	v_not_b32_e32 v2, v2
	v_lshlrev_b64 v[28:29], v25, 1
	v_lshrrev_b32_e32 v25, 23, v36
	v_and_b32_e32 v3, 0, v3
	v_and_b32_e32 v2, v54, v2
	v_add3_u32 v27, v24, v27, v25
	v_bfe_u32 v24, v36, 21, 1
	v_add_u32_e32 v24, -1, v24
	v_cmp_eq_u64_e32 vcc, v[2:3], v[28:29]
	v_cndmask_b32_e32 v2, 0, v24, vcc
	v_add_u32_e32 v2, v2, v36
	v_and_b32_e32 v2, 0x1fffff, v2
	v_add_co_u32_e32 v2, vcc, v2, v36
	v_add_u32_e32 v25, 14, v27
	v_addc_co_u32_e32 v3, vcc, 0, v37, vcc
	v_cmp_ne_u32_e32 vcc, 0, v25
                                        ; implicit-def: $vgpr24
	s_and_saveexec_b64 s[18:19], vcc
	s_xor_b64 s[18:19], exec, s[18:19]
; %bb.739:                              ;   in Loop: Header=BB4_539 Depth=2
	v_add_u32_e32 v24, 15, v27
	v_cmp_lt_u64_e32 vcc, s[44:45], v[2:3]
	v_cndmask_b32_e32 v24, v25, v24, vcc
	v_cndmask_b32_e64 v25, 0, 1, vcc
	v_lshrrev_b64 v[2:3], v25, v[2:3]
; %bb.740:                              ;   in Loop: Header=BB4_539 Depth=2
	s_andn2_saveexec_b64 s[18:19], s[18:19]
; %bb.741:                              ;   in Loop: Header=BB4_539 Depth=2
	v_bfe_u32 v24, v2, 23, 1
; %bb.742:                              ;   in Loop: Header=BB4_539 Depth=2
	s_or_b64 exec, exec, s[18:19]
	v_lshrrev_b64 v[2:3], 21, v[2:3]
	v_cmp_gt_i32_e32 vcc, 32, v24
	v_cndmask_b32_e32 v3, 0, v3, vcc
	v_cndmask_b32_e32 v2, 3, v2, vcc
	v_cmp_eq_u64_e64 s[18:19], 0, v[2:3]
	v_min_i32_e32 v3, 31, v24
	v_cmp_eq_u32_e32 vcc, 0, v24
	v_lshlrev_b32_e32 v3, 2, v3
	v_and_or_b32 v2, v2, 3, v3
	s_and_b64 s[18:19], vcc, s[18:19]
	v_cndmask_b32_e64 v2, v2, 0, s[18:19]
	v_or_b32_e32 v27, v2, v23
.LBB4_743:                              ;   in Loop: Header=BB4_539 Depth=2
	s_or_b64 exec, exec, s[52:53]
.LBB4_744:                              ;   in Loop: Header=BB4_539 Depth=2
	s_or_b64 exec, exec, s[50:51]
                                        ; implicit-def: $vgpr3
.LBB4_745:                              ;   in Loop: Header=BB4_539 Depth=2
	s_andn2_saveexec_b64 s[18:19], s[48:49]
; %bb.746:                              ;   in Loop: Header=BB4_539 Depth=2
	v_or_b32_sdwa v2, v3, s70 dst_sel:DWORD dst_unused:UNUSED_PAD src0_sel:BYTE_3 src1_sel:DWORD
	v_cmp_eq_u64_e32 vcc, 0, v[54:55]
	v_cndmask_b32_e32 v27, v2, v27, vcc
; %bb.747:                              ;   in Loop: Header=BB4_539 Depth=2
	s_or_b64 exec, exec, s[18:19]
	v_alignbit_b32 v54, v32, v33, v22
	v_cmp_ne_u16_sdwa s[18:19], v4, v55 src0_sel:BYTE_0 src1_sel:DWORD
                                        ; implicit-def: $vgpr23
	s_and_saveexec_b64 vcc, s[14:15]
	s_xor_b64 s[48:49], exec, vcc
	s_cbranch_execz .LBB4_765
; %bb.748:                              ;   in Loop: Header=BB4_539 Depth=2
	v_mov_b32_e32 v3, 0
	v_mov_b32_e32 v2, 0
	s_and_saveexec_b64 s[50:51], s[18:19]
	s_cbranch_execz .LBB4_756
; %bb.749:                              ;   in Loop: Header=BB4_539 Depth=2
	v_cmp_ne_u16_sdwa vcc, sext(v4), s65 src0_sel:BYTE_0 src1_sel:DWORD
	v_bfrev_b32_e32 v2, 1
	s_and_saveexec_b64 s[52:53], vcc
	s_cbranch_execz .LBB4_755
; %bb.750:                              ;   in Loop: Header=BB4_539 Depth=2
	v_and_b32_e32 v2, 0x7c, v4
	v_and_b32_e32 v22, 3, v4
	v_cmp_ne_u32_e32 vcc, s66, v2
                                        ; implicit-def: $vgpr2
	s_and_saveexec_b64 s[54:55], vcc
	s_xor_b64 s[54:55], exec, s[54:55]
	s_cbranch_execz .LBB4_752
; %bb.751:                              ;   in Loop: Header=BB4_539 Depth=2
	v_ffbh_u32_e32 v23, v22
	v_bfe_u32 v2, v4, 2, 5
	v_min_u32_e32 v23, 32, v23
	v_subrev_u32_e32 v24, 29, v23
	v_sub_u32_e32 v23, 30, v23
	v_cmp_eq_u32_e32 vcc, 0, v2
	v_lshlrev_b64 v[24:25], v24, v[4:5]
	v_cndmask_b32_e32 v2, v2, v23, vcc
	v_and_b32_e32 v24, 3, v24
	v_lshlrev_b32_e32 v23, 24, v4
	v_lshl_add_u32 v2, v2, 23, v47
	v_cndmask_b32_e32 v22, v22, v24, vcc
	v_and_or_b32 v2, v23, s67, v2
	v_lshl_or_b32 v2, v22, 21, v2
                                        ; implicit-def: $vgpr22
.LBB4_752:                              ;   in Loop: Header=BB4_539 Depth=2
	s_andn2_saveexec_b64 s[54:55], s[54:55]
; %bb.753:                              ;   in Loop: Header=BB4_539 Depth=2
	v_cmp_gt_i16_sdwa vcc, sext(v4), v6 src0_sel:BYTE_0 src1_sel:DWORD
	v_cndmask_b32_e32 v2, v7, v10, vcc
	v_cmp_eq_u32_e32 vcc, 0, v22
	v_cndmask_b32_e32 v2, v11, v2, vcc
; %bb.754:                              ;   in Loop: Header=BB4_539 Depth=2
	s_or_b64 exec, exec, s[54:55]
.LBB4_755:                              ;   in Loop: Header=BB4_539 Depth=2
	s_or_b64 exec, exec, s[52:53]
.LBB4_756:                              ;   in Loop: Header=BB4_539 Depth=2
	s_or_b64 exec, exec, s[50:51]
	v_cmp_ne_u16_sdwa vcc, sext(v54), v55 src0_sel:BYTE_0 src1_sel:DWORD
	s_and_saveexec_b64 s[50:51], vcc
	s_cbranch_execz .LBB4_764
; %bb.757:                              ;   in Loop: Header=BB4_539 Depth=2
	v_cmp_ne_u16_sdwa vcc, sext(v54), s65 src0_sel:BYTE_0 src1_sel:DWORD
	v_bfrev_b32_e32 v3, 1
	s_and_saveexec_b64 s[52:53], vcc
	s_cbranch_execz .LBB4_763
; %bb.758:                              ;   in Loop: Header=BB4_539 Depth=2
	v_and_b32_e32 v3, 0x7c, v54
	v_and_b32_e32 v22, 3, v54
	v_cmp_ne_u32_e32 vcc, s66, v3
                                        ; implicit-def: $vgpr3
	s_and_saveexec_b64 s[54:55], vcc
	s_xor_b64 s[54:55], exec, s[54:55]
	s_cbranch_execz .LBB4_760
; %bb.759:                              ;   in Loop: Header=BB4_539 Depth=2
	v_ffbh_u32_e32 v23, v22
	v_bfe_u32 v3, v54, 2, 5
	v_min_u32_e32 v23, 32, v23
	v_subrev_u32_e32 v24, 29, v23
	v_sub_u32_e32 v23, 30, v23
	v_cmp_eq_u32_e32 vcc, 0, v3
	v_lshlrev_b64 v[24:25], v24, v[54:55]
	v_cndmask_b32_e32 v3, v3, v23, vcc
	v_and_b32_e32 v24, 3, v24
	v_lshlrev_b32_e32 v23, 24, v54
	v_lshl_add_u32 v3, v3, 23, v47
	v_cndmask_b32_e32 v22, v22, v24, vcc
	v_and_or_b32 v3, v23, s67, v3
	v_lshl_or_b32 v3, v22, 21, v3
                                        ; implicit-def: $vgpr22
.LBB4_760:                              ;   in Loop: Header=BB4_539 Depth=2
	s_andn2_saveexec_b64 s[54:55], s[54:55]
; %bb.761:                              ;   in Loop: Header=BB4_539 Depth=2
	v_cmp_gt_i16_sdwa vcc, sext(v54), v6 src0_sel:BYTE_0 src1_sel:DWORD
	v_cndmask_b32_e32 v3, v7, v10, vcc
	v_cmp_eq_u32_e32 vcc, 0, v22
	v_cndmask_b32_e32 v3, v11, v3, vcc
; %bb.762:                              ;   in Loop: Header=BB4_539 Depth=2
	s_or_b64 exec, exec, s[54:55]
.LBB4_763:                              ;   in Loop: Header=BB4_539 Depth=2
	s_or_b64 exec, exec, s[52:53]
.LBB4_764:                              ;   in Loop: Header=BB4_539 Depth=2
	s_or_b64 exec, exec, s[50:51]
	v_max_f32_e32 v3, v3, v3
	v_max_f32_e32 v2, v2, v2
	;; [unrolled: 1-line block ×3, first 2 shown]
.LBB4_765:                              ;   in Loop: Header=BB4_539 Depth=2
	s_andn2_saveexec_b64 s[48:49], s[48:49]
	s_cbranch_execz .LBB4_783
; %bb.766:                              ;   in Loop: Header=BB4_539 Depth=2
	v_mov_b32_e32 v3, 0
	v_mov_b32_e32 v2, 0
	s_and_saveexec_b64 s[50:51], s[18:19]
	s_cbranch_execz .LBB4_774
; %bb.767:                              ;   in Loop: Header=BB4_539 Depth=2
	v_cmp_ne_u16_sdwa vcc, sext(v4), s65 src0_sel:BYTE_0 src1_sel:DWORD
	v_bfrev_b32_e32 v2, 1
	s_and_saveexec_b64 s[18:19], vcc
	s_cbranch_execz .LBB4_773
; %bb.768:                              ;   in Loop: Header=BB4_539 Depth=2
	v_and_b32_e32 v2, 0x7c, v4
	v_and_b32_e32 v22, 3, v4
	v_cmp_ne_u32_e32 vcc, s66, v2
                                        ; implicit-def: $vgpr2
	s_and_saveexec_b64 s[52:53], vcc
	s_xor_b64 s[52:53], exec, s[52:53]
	s_cbranch_execz .LBB4_770
; %bb.769:                              ;   in Loop: Header=BB4_539 Depth=2
	v_ffbh_u32_e32 v23, v22
	v_min_u32_e32 v23, 32, v23
	v_bfe_u32 v2, v4, 2, 5
	v_subrev_u32_e32 v24, 29, v23
	v_lshlrev_b64 v[24:25], v24, v[4:5]
	v_sub_u32_e32 v5, 30, v23
	v_cmp_eq_u32_e32 vcc, 0, v2
	v_and_b32_e32 v23, 3, v24
	v_cndmask_b32_e32 v2, v2, v5, vcc
	v_cndmask_b32_e32 v5, v22, v23, vcc
	v_lshlrev_b32_e32 v22, 24, v4
	v_lshl_add_u32 v2, v2, 23, v47
	v_and_or_b32 v2, v22, s67, v2
	v_lshl_or_b32 v2, v5, 21, v2
                                        ; implicit-def: $vgpr22
.LBB4_770:                              ;   in Loop: Header=BB4_539 Depth=2
	s_andn2_saveexec_b64 s[52:53], s[52:53]
; %bb.771:                              ;   in Loop: Header=BB4_539 Depth=2
	v_cmp_gt_i16_sdwa vcc, sext(v4), v6 src0_sel:BYTE_0 src1_sel:DWORD
	v_cndmask_b32_e32 v2, v7, v10, vcc
	v_cmp_eq_u32_e32 vcc, 0, v22
	v_cndmask_b32_e32 v2, v11, v2, vcc
; %bb.772:                              ;   in Loop: Header=BB4_539 Depth=2
	s_or_b64 exec, exec, s[52:53]
.LBB4_773:                              ;   in Loop: Header=BB4_539 Depth=2
	s_or_b64 exec, exec, s[18:19]
.LBB4_774:                              ;   in Loop: Header=BB4_539 Depth=2
	s_or_b64 exec, exec, s[50:51]
	v_cmp_ne_u16_sdwa vcc, sext(v54), v55 src0_sel:BYTE_0 src1_sel:DWORD
	s_and_saveexec_b64 s[18:19], vcc
	s_cbranch_execz .LBB4_782
; %bb.775:                              ;   in Loop: Header=BB4_539 Depth=2
	v_cmp_ne_u16_sdwa vcc, sext(v54), s65 src0_sel:BYTE_0 src1_sel:DWORD
	v_bfrev_b32_e32 v3, 1
	s_and_saveexec_b64 s[50:51], vcc
	s_cbranch_execz .LBB4_781
; %bb.776:                              ;   in Loop: Header=BB4_539 Depth=2
	v_and_b32_e32 v3, 0x7c, v54
	v_and_b32_e32 v5, 3, v54
	v_cmp_ne_u32_e32 vcc, s66, v3
                                        ; implicit-def: $vgpr3
	s_and_saveexec_b64 s[52:53], vcc
	s_xor_b64 s[52:53], exec, s[52:53]
	s_cbranch_execz .LBB4_778
; %bb.777:                              ;   in Loop: Header=BB4_539 Depth=2
	v_ffbh_u32_e32 v22, v5
	v_min_u32_e32 v24, 32, v22
	v_subrev_u32_e32 v22, 29, v24
	v_bfe_u32 v3, v54, 2, 5
	v_lshlrev_b64 v[22:23], v22, v[54:55]
	v_sub_u32_e32 v23, 30, v24
	v_cmp_eq_u32_e32 vcc, 0, v3
	v_and_b32_e32 v22, 3, v22
	v_cndmask_b32_e32 v3, v3, v23, vcc
	v_cndmask_b32_e32 v5, v5, v22, vcc
	v_lshlrev_b32_e32 v22, 24, v54
	v_lshl_add_u32 v3, v3, 23, v47
	v_and_or_b32 v3, v22, s67, v3
	v_lshl_or_b32 v3, v5, 21, v3
                                        ; implicit-def: $vgpr5
.LBB4_778:                              ;   in Loop: Header=BB4_539 Depth=2
	s_andn2_saveexec_b64 s[52:53], s[52:53]
; %bb.779:                              ;   in Loop: Header=BB4_539 Depth=2
	v_cmp_gt_i16_sdwa vcc, sext(v54), v6 src0_sel:BYTE_0 src1_sel:DWORD
	v_cndmask_b32_e32 v3, v7, v10, vcc
	v_cmp_eq_u32_e32 vcc, 0, v5
	v_cndmask_b32_e32 v3, v11, v3, vcc
; %bb.780:                              ;   in Loop: Header=BB4_539 Depth=2
	s_or_b64 exec, exec, s[52:53]
.LBB4_781:                              ;   in Loop: Header=BB4_539 Depth=2
	s_or_b64 exec, exec, s[50:51]
.LBB4_782:                              ;   in Loop: Header=BB4_539 Depth=2
	s_or_b64 exec, exec, s[18:19]
	v_max_f32_e32 v3, v3, v3
	v_max_f32_e32 v2, v2, v2
	v_min_f32_e32 v23, v2, v3
.LBB4_783:                              ;   in Loop: Header=BB4_539 Depth=2
	s_or_b64 exec, exec, s[48:49]
	v_and_b32_sdwa v5, v23, s68 dst_sel:DWORD dst_unused:UNUSED_PAD src0_sel:BYTE_3 src1_sel:DWORD
	v_and_b32_e32 v24, 0x7f800000, v23
	v_mov_b32_e32 v25, v55
	v_and_b32_e32 v2, 0x7fffff, v23
	v_mov_b32_e32 v3, v55
	v_or_b32_e32 v22, 0x7b, v5
	v_cmp_ne_u64_e32 vcc, s[40:41], v[24:25]
	s_and_saveexec_b64 s[18:19], vcc
	s_xor_b64 s[48:49], exec, s[18:19]
	s_cbranch_execz .LBB4_793
; %bb.784:                              ;   in Loop: Header=BB4_539 Depth=2
	v_and_b32_e32 v24, 0x7fffffff, v23
	v_mov_b32_e32 v25, v55
	v_cmp_gt_u64_e32 vcc, s[42:43], v[24:25]
	s_and_saveexec_b64 s[50:51], vcc
	s_cbranch_execz .LBB4_792
; %bb.785:                              ;   in Loop: Header=BB4_539 Depth=2
	v_cmp_ne_u32_e32 vcc, 0, v23
	v_mov_b32_e32 v22, 0
	s_and_saveexec_b64 s[52:53], vcc
	s_cbranch_execz .LBB4_791
; %bb.786:                              ;   in Loop: Header=BB4_539 Depth=2
	v_bfe_u32 v22, v23, 23, 8
	v_sub_u32_e32 v24, 0x71, v22
	v_cmp_gt_u32_e32 vcc, s69, v22
	v_cndmask_b32_e32 v24, 0, v24, vcc
	v_cmp_eq_u32_e32 vcc, 0, v22
	v_cndmask_b32_e32 v24, v24, v48, vcc
	v_add_u32_e32 v23, 0xffffff81, v22
	v_add_u32_e32 v22, 21, v24
	v_or_b32_e32 v25, 0x800000, v2
	v_cndmask_b32_e32 v36, v23, v30, vcc
	v_lshlrev_b64 v[22:23], v22, -1
	v_cndmask_b32_e32 v2, v25, v2, vcc
	v_not_b32_e32 v22, v22
	v_and_b32_e32 v28, v2, v22
	v_add_u32_e32 v22, 20, v24
	v_lshrrev_b64 v[2:3], v24, v[2:3]
	v_not_b32_e32 v23, v23
	v_lshlrev_b64 v[32:33], v22, 1
	v_lshrrev_b32_e32 v22, 23, v2
	v_and_b32_e32 v29, 0, v23
	v_add3_u32 v24, v24, v36, v22
	v_bfe_u32 v22, v2, 21, 1
	v_add_u32_e32 v22, -1, v22
	v_cmp_eq_u64_e32 vcc, v[28:29], v[32:33]
	v_cndmask_b32_e32 v22, 0, v22, vcc
	v_add_u32_e32 v22, v22, v2
	v_and_b32_e32 v22, 0x1fffff, v22
	v_add_co_u32_e32 v2, vcc, v22, v2
	v_add_u32_e32 v23, 14, v24
	v_addc_co_u32_e32 v3, vcc, 0, v3, vcc
	v_cmp_ne_u32_e32 vcc, 0, v23
                                        ; implicit-def: $vgpr22
	s_and_saveexec_b64 s[18:19], vcc
	s_xor_b64 s[18:19], exec, s[18:19]
; %bb.787:                              ;   in Loop: Header=BB4_539 Depth=2
	v_add_u32_e32 v22, 15, v24
	v_cmp_lt_u64_e32 vcc, s[44:45], v[2:3]
	v_cndmask_b32_e32 v22, v23, v22, vcc
	v_cndmask_b32_e64 v23, 0, 1, vcc
	v_lshrrev_b64 v[2:3], v23, v[2:3]
; %bb.788:                              ;   in Loop: Header=BB4_539 Depth=2
	s_andn2_saveexec_b64 s[18:19], s[18:19]
; %bb.789:                              ;   in Loop: Header=BB4_539 Depth=2
	v_bfe_u32 v22, v2, 23, 1
; %bb.790:                              ;   in Loop: Header=BB4_539 Depth=2
	s_or_b64 exec, exec, s[18:19]
	v_lshrrev_b64 v[2:3], 21, v[2:3]
	v_cmp_gt_i32_e32 vcc, 32, v22
	v_cndmask_b32_e32 v3, 0, v3, vcc
	v_cndmask_b32_e32 v2, 3, v2, vcc
	v_cmp_eq_u64_e64 s[18:19], 0, v[2:3]
	v_min_i32_e32 v3, 31, v22
	v_cmp_eq_u32_e32 vcc, 0, v22
	v_lshlrev_b32_e32 v3, 2, v3
	v_and_or_b32 v2, v2, 3, v3
	s_and_b64 s[18:19], vcc, s[18:19]
	v_cndmask_b32_e64 v2, v2, 0, s[18:19]
	v_or_b32_e32 v22, v2, v5
.LBB4_791:                              ;   in Loop: Header=BB4_539 Depth=2
	s_or_b64 exec, exec, s[52:53]
.LBB4_792:                              ;   in Loop: Header=BB4_539 Depth=2
	s_or_b64 exec, exec, s[50:51]
                                        ; implicit-def: $vgpr23
                                        ; implicit-def: $vgpr2_vgpr3
.LBB4_793:                              ;   in Loop: Header=BB4_539 Depth=2
	s_andn2_saveexec_b64 s[18:19], s[48:49]
; %bb.794:                              ;   in Loop: Header=BB4_539 Depth=2
	v_or_b32_sdwa v5, v23, s70 dst_sel:DWORD dst_unused:UNUSED_PAD src0_sel:BYTE_3 src1_sel:DWORD
	v_cmp_eq_u64_e32 vcc, 0, v[2:3]
	v_cndmask_b32_e32 v22, v5, v22, vcc
; %bb.795:                              ;   in Loop: Header=BB4_539 Depth=2
	s_or_b64 exec, exec, s[18:19]
	v_lshrrev_b16_e32 v24, 8, v4
	v_lshrrev_b16_e32 v2, 8, v54
	v_cmp_ne_u16_e32 vcc, 0, v24
                                        ; implicit-def: $vgpr25
	s_and_saveexec_b64 s[18:19], s[14:15]
	s_xor_b64 s[48:49], exec, s[18:19]
	s_cbranch_execz .LBB4_813
; %bb.796:                              ;   in Loop: Header=BB4_539 Depth=2
	v_mov_b32_e32 v3, 0
	v_mov_b32_e32 v5, 0
	s_and_saveexec_b64 s[50:51], vcc
	s_cbranch_execz .LBB4_804
; %bb.797:                              ;   in Loop: Header=BB4_539 Depth=2
	v_cmp_ne_u16_e64 s[18:19], s68, v24
	v_bfrev_b32_e32 v5, 1
	s_and_saveexec_b64 s[52:53], s[18:19]
	s_cbranch_execz .LBB4_803
; %bb.798:                              ;   in Loop: Header=BB4_539 Depth=2
	v_and_b32_e32 v5, 0x7c, v24
	v_and_b32_e32 v23, 3, v24
	v_cmp_ne_u32_e64 s[18:19], s66, v5
                                        ; implicit-def: $vgpr5
	s_and_saveexec_b64 s[54:55], s[18:19]
	s_xor_b64 s[54:55], exec, s[54:55]
	s_cbranch_execz .LBB4_800
; %bb.799:                              ;   in Loop: Header=BB4_539 Depth=2
	v_ffbh_u32_e32 v28, v23
	v_min_u32_e32 v28, 32, v28
	v_mov_b32_e32 v25, v55
	v_subrev_u32_e32 v29, 29, v28
	v_bfe_u32 v5, v24, 2, 5
	v_lshlrev_b64 v[24:25], v29, v[24:25]
	v_sub_u32_e32 v25, 30, v28
	v_cmp_eq_u32_e64 s[18:19], 0, v5
	v_and_b32_e32 v24, 3, v24
	v_cndmask_b32_e64 v5, v5, v25, s[18:19]
	v_cndmask_b32_e64 v23, v23, v24, s[18:19]
	v_lshlrev_b32_e32 v24, 16, v4
	v_lshl_add_u32 v5, v5, 23, v47
	v_and_or_b32 v5, v24, s67, v5
	v_lshl_or_b32 v5, v23, 21, v5
                                        ; implicit-def: $vgpr23
.LBB4_800:                              ;   in Loop: Header=BB4_539 Depth=2
	s_andn2_saveexec_b64 s[54:55], s[54:55]
; %bb.801:                              ;   in Loop: Header=BB4_539 Depth=2
	v_cmp_lt_i16_e64 s[18:19], -1, v4
	v_cndmask_b32_e64 v5, v7, v10, s[18:19]
	v_cmp_eq_u32_e64 s[18:19], 0, v23
	v_cndmask_b32_e64 v5, v11, v5, s[18:19]
; %bb.802:                              ;   in Loop: Header=BB4_539 Depth=2
	s_or_b64 exec, exec, s[54:55]
.LBB4_803:                              ;   in Loop: Header=BB4_539 Depth=2
	s_or_b64 exec, exec, s[52:53]
.LBB4_804:                              ;   in Loop: Header=BB4_539 Depth=2
	s_or_b64 exec, exec, s[50:51]
	v_cmp_ne_u16_e64 s[18:19], 0, v2
	s_and_saveexec_b64 s[50:51], s[18:19]
	s_cbranch_execz .LBB4_812
; %bb.805:                              ;   in Loop: Header=BB4_539 Depth=2
	v_cmp_ne_u16_e64 s[18:19], s68, v2
	v_bfrev_b32_e32 v3, 1
	s_and_saveexec_b64 s[52:53], s[18:19]
	s_cbranch_execz .LBB4_811
; %bb.806:                              ;   in Loop: Header=BB4_539 Depth=2
	v_and_b32_e32 v3, 0x7c, v2
	v_and_b32_e32 v23, 3, v2
	v_cmp_ne_u32_e64 s[18:19], s66, v3
                                        ; implicit-def: $vgpr3
	s_and_saveexec_b64 s[54:55], s[18:19]
	s_xor_b64 s[54:55], exec, s[54:55]
	s_cbranch_execz .LBB4_808
; %bb.807:                              ;   in Loop: Header=BB4_539 Depth=2
	v_ffbh_u32_e32 v25, v23
	v_min_u32_e32 v25, 32, v25
	v_mov_b32_e32 v3, v55
	v_subrev_u32_e32 v28, 29, v25
	v_bfe_u32 v24, v2, 2, 5
	v_lshlrev_b64 v[2:3], v28, v[2:3]
	v_sub_u32_e32 v3, 30, v25
	v_cmp_eq_u32_e64 s[18:19], 0, v24
	v_and_b32_e32 v2, 3, v2
	v_cndmask_b32_e64 v3, v24, v3, s[18:19]
	v_cndmask_b32_e64 v2, v23, v2, s[18:19]
	v_lshlrev_b32_e32 v23, 16, v54
	v_lshl_add_u32 v3, v3, 23, v47
	v_and_or_b32 v3, v23, s67, v3
	v_lshl_or_b32 v3, v2, 21, v3
                                        ; implicit-def: $vgpr23
.LBB4_808:                              ;   in Loop: Header=BB4_539 Depth=2
	s_andn2_saveexec_b64 s[54:55], s[54:55]
; %bb.809:                              ;   in Loop: Header=BB4_539 Depth=2
	v_cmp_lt_i16_e64 s[18:19], -1, v54
	v_cndmask_b32_e64 v2, v7, v10, s[18:19]
	v_cmp_eq_u32_e64 s[18:19], 0, v23
	v_cndmask_b32_e64 v3, v11, v2, s[18:19]
; %bb.810:                              ;   in Loop: Header=BB4_539 Depth=2
	s_or_b64 exec, exec, s[54:55]
.LBB4_811:                              ;   in Loop: Header=BB4_539 Depth=2
	s_or_b64 exec, exec, s[52:53]
.LBB4_812:                              ;   in Loop: Header=BB4_539 Depth=2
	s_or_b64 exec, exec, s[50:51]
	v_max_f32_e32 v2, v3, v3
	v_max_f32_e32 v3, v5, v5
	;; [unrolled: 1-line block ×3, first 2 shown]
                                        ; implicit-def: $vgpr2
                                        ; implicit-def: $vgpr24
.LBB4_813:                              ;   in Loop: Header=BB4_539 Depth=2
	s_andn2_saveexec_b64 s[18:19], s[48:49]
	s_cbranch_execz .LBB4_831
; %bb.814:                              ;   in Loop: Header=BB4_539 Depth=2
	v_mov_b32_e32 v3, 0
	v_mov_b32_e32 v5, 0
	s_and_saveexec_b64 s[48:49], vcc
	s_cbranch_execz .LBB4_822
; %bb.815:                              ;   in Loop: Header=BB4_539 Depth=2
	v_cmp_ne_u16_e32 vcc, s68, v24
	v_bfrev_b32_e32 v5, 1
	s_and_saveexec_b64 s[50:51], vcc
	s_cbranch_execz .LBB4_821
; %bb.816:                              ;   in Loop: Header=BB4_539 Depth=2
	v_and_b32_e32 v5, 0x7c, v24
	v_and_b32_e32 v23, 3, v24
	v_cmp_ne_u32_e32 vcc, s66, v5
                                        ; implicit-def: $vgpr5
	s_and_saveexec_b64 s[52:53], vcc
	s_xor_b64 s[52:53], exec, s[52:53]
	s_cbranch_execz .LBB4_818
; %bb.817:                              ;   in Loop: Header=BB4_539 Depth=2
	v_ffbh_u32_e32 v28, v23
	v_min_u32_e32 v28, 32, v28
	v_mov_b32_e32 v25, v55
	v_subrev_u32_e32 v29, 29, v28
	v_bfe_u32 v5, v24, 2, 5
	v_lshlrev_b64 v[24:25], v29, v[24:25]
	v_sub_u32_e32 v25, 30, v28
	v_cmp_eq_u32_e32 vcc, 0, v5
	v_and_b32_e32 v24, 3, v24
	v_cndmask_b32_e32 v5, v5, v25, vcc
	v_cndmask_b32_e32 v23, v23, v24, vcc
	v_lshlrev_b32_e32 v24, 16, v4
	v_lshl_add_u32 v5, v5, 23, v47
	v_and_or_b32 v5, v24, s67, v5
	v_lshl_or_b32 v5, v23, 21, v5
                                        ; implicit-def: $vgpr23
.LBB4_818:                              ;   in Loop: Header=BB4_539 Depth=2
	s_andn2_saveexec_b64 s[52:53], s[52:53]
; %bb.819:                              ;   in Loop: Header=BB4_539 Depth=2
	v_cmp_lt_i16_e32 vcc, -1, v4
	v_cndmask_b32_e32 v5, v7, v10, vcc
	v_cmp_eq_u32_e32 vcc, 0, v23
	v_cndmask_b32_e32 v5, v11, v5, vcc
; %bb.820:                              ;   in Loop: Header=BB4_539 Depth=2
	s_or_b64 exec, exec, s[52:53]
.LBB4_821:                              ;   in Loop: Header=BB4_539 Depth=2
	s_or_b64 exec, exec, s[50:51]
.LBB4_822:                              ;   in Loop: Header=BB4_539 Depth=2
	s_or_b64 exec, exec, s[48:49]
	v_cmp_ne_u16_e32 vcc, 0, v2
	s_and_saveexec_b64 s[48:49], vcc
	s_cbranch_execz .LBB4_830
; %bb.823:                              ;   in Loop: Header=BB4_539 Depth=2
	v_cmp_ne_u16_e32 vcc, s68, v2
	v_bfrev_b32_e32 v3, 1
	s_and_saveexec_b64 s[50:51], vcc
	s_cbranch_execz .LBB4_829
; %bb.824:                              ;   in Loop: Header=BB4_539 Depth=2
	v_and_b32_e32 v3, 0x7c, v2
	v_and_b32_e32 v23, 3, v2
	v_cmp_ne_u32_e32 vcc, s66, v3
                                        ; implicit-def: $vgpr3
	s_and_saveexec_b64 s[52:53], vcc
	s_xor_b64 s[52:53], exec, s[52:53]
	s_cbranch_execz .LBB4_826
; %bb.825:                              ;   in Loop: Header=BB4_539 Depth=2
	v_ffbh_u32_e32 v25, v23
	v_min_u32_e32 v25, 32, v25
	v_mov_b32_e32 v3, v55
	v_subrev_u32_e32 v28, 29, v25
	v_bfe_u32 v24, v2, 2, 5
	v_lshlrev_b64 v[2:3], v28, v[2:3]
	v_sub_u32_e32 v3, 30, v25
	v_cmp_eq_u32_e32 vcc, 0, v24
	v_and_b32_e32 v2, 3, v2
	v_cndmask_b32_e32 v3, v24, v3, vcc
	v_cndmask_b32_e32 v2, v23, v2, vcc
	v_lshlrev_b32_e32 v23, 16, v54
	v_lshl_add_u32 v3, v3, 23, v47
	v_and_or_b32 v3, v23, s67, v3
	v_lshl_or_b32 v3, v2, 21, v3
                                        ; implicit-def: $vgpr23
.LBB4_826:                              ;   in Loop: Header=BB4_539 Depth=2
	s_andn2_saveexec_b64 s[52:53], s[52:53]
; %bb.827:                              ;   in Loop: Header=BB4_539 Depth=2
	v_cmp_lt_i16_e32 vcc, -1, v54
	v_cndmask_b32_e32 v2, v7, v10, vcc
	v_cmp_eq_u32_e32 vcc, 0, v23
	v_cndmask_b32_e32 v3, v11, v2, vcc
; %bb.828:                              ;   in Loop: Header=BB4_539 Depth=2
	s_or_b64 exec, exec, s[52:53]
.LBB4_829:                              ;   in Loop: Header=BB4_539 Depth=2
	s_or_b64 exec, exec, s[50:51]
.LBB4_830:                              ;   in Loop: Header=BB4_539 Depth=2
	s_or_b64 exec, exec, s[48:49]
	v_max_f32_e32 v2, v3, v3
	v_max_f32_e32 v3, v5, v5
	v_min_f32_e32 v25, v3, v2
.LBB4_831:                              ;   in Loop: Header=BB4_539 Depth=2
	s_or_b64 exec, exec, s[18:19]
	v_and_b32_sdwa v5, v25, s68 dst_sel:DWORD dst_unused:UNUSED_PAD src0_sel:BYTE_3 src1_sel:DWORD
	v_and_b32_e32 v28, 0x7f800000, v25
	v_mov_b32_e32 v29, v55
	v_and_b32_e32 v2, 0x7fffff, v25
	v_mov_b32_e32 v3, v55
	v_or_b32_e32 v23, 0x7b, v5
	v_cmp_ne_u64_e32 vcc, s[40:41], v[28:29]
	s_and_saveexec_b64 s[18:19], vcc
	s_xor_b64 s[48:49], exec, s[18:19]
	s_cbranch_execz .LBB4_841
; %bb.832:                              ;   in Loop: Header=BB4_539 Depth=2
	v_and_b32_e32 v28, 0x7fffffff, v25
	v_mov_b32_e32 v29, v55
	v_cmp_gt_u64_e32 vcc, s[42:43], v[28:29]
	s_and_saveexec_b64 s[50:51], vcc
	s_cbranch_execz .LBB4_840
; %bb.833:                              ;   in Loop: Header=BB4_539 Depth=2
	v_cmp_ne_u32_e32 vcc, 0, v25
	v_mov_b32_e32 v23, 0
	s_and_saveexec_b64 s[52:53], vcc
	s_cbranch_execz .LBB4_839
; %bb.834:                              ;   in Loop: Header=BB4_539 Depth=2
	v_bfe_u32 v23, v25, 23, 8
	v_sub_u32_e32 v25, 0x71, v23
	v_cmp_gt_u32_e32 vcc, s69, v23
	v_cndmask_b32_e32 v25, 0, v25, vcc
	v_cmp_eq_u32_e32 vcc, 0, v23
	v_add_u32_e32 v24, 0xffffff81, v23
	v_cndmask_b32_e32 v36, v25, v48, vcc
	v_cndmask_b32_e32 v23, v24, v30, vcc
	v_add_u32_e32 v24, 21, v36
	v_or_b32_e32 v28, 0x800000, v2
	v_lshlrev_b64 v[24:25], v24, -1
	v_cndmask_b32_e32 v2, v28, v2, vcc
	v_not_b32_e32 v24, v24
	v_and_b32_e32 v28, v2, v24
	v_add_u32_e32 v24, 20, v36
	v_lshrrev_b64 v[2:3], v36, v[2:3]
	v_not_b32_e32 v25, v25
	v_lshlrev_b64 v[32:33], v24, 1
	v_lshrrev_b32_e32 v24, 23, v2
	v_and_b32_e32 v29, 0, v25
	v_add3_u32 v25, v36, v23, v24
	v_bfe_u32 v23, v2, 21, 1
	v_add_u32_e32 v23, -1, v23
	v_cmp_eq_u64_e32 vcc, v[28:29], v[32:33]
	v_cndmask_b32_e32 v23, 0, v23, vcc
	v_add_u32_e32 v23, v23, v2
	v_and_b32_e32 v23, 0x1fffff, v23
	v_add_co_u32_e32 v2, vcc, v23, v2
	v_add_u32_e32 v24, 14, v25
	v_addc_co_u32_e32 v3, vcc, 0, v3, vcc
	v_cmp_ne_u32_e32 vcc, 0, v24
                                        ; implicit-def: $vgpr23
	s_and_saveexec_b64 s[18:19], vcc
	s_xor_b64 s[18:19], exec, s[18:19]
; %bb.835:                              ;   in Loop: Header=BB4_539 Depth=2
	v_add_u32_e32 v23, 15, v25
	v_cmp_lt_u64_e32 vcc, s[44:45], v[2:3]
	v_cndmask_b32_e32 v23, v24, v23, vcc
	v_cndmask_b32_e64 v24, 0, 1, vcc
	v_lshrrev_b64 v[2:3], v24, v[2:3]
; %bb.836:                              ;   in Loop: Header=BB4_539 Depth=2
	s_andn2_saveexec_b64 s[18:19], s[18:19]
; %bb.837:                              ;   in Loop: Header=BB4_539 Depth=2
	v_bfe_u32 v23, v2, 23, 1
; %bb.838:                              ;   in Loop: Header=BB4_539 Depth=2
	s_or_b64 exec, exec, s[18:19]
	v_lshrrev_b64 v[2:3], 21, v[2:3]
	v_cmp_gt_i32_e32 vcc, 32, v23
	v_cndmask_b32_e32 v3, 0, v3, vcc
	v_cndmask_b32_e32 v2, 3, v2, vcc
	v_cmp_eq_u64_e64 s[18:19], 0, v[2:3]
	v_min_i32_e32 v3, 31, v23
	v_cmp_eq_u32_e32 vcc, 0, v23
	v_lshlrev_b32_e32 v3, 2, v3
	v_and_or_b32 v2, v2, 3, v3
	s_and_b64 s[18:19], vcc, s[18:19]
	v_cndmask_b32_e64 v2, v2, 0, s[18:19]
	v_or_b32_e32 v23, v2, v5
.LBB4_839:                              ;   in Loop: Header=BB4_539 Depth=2
	s_or_b64 exec, exec, s[52:53]
.LBB4_840:                              ;   in Loop: Header=BB4_539 Depth=2
	s_or_b64 exec, exec, s[50:51]
                                        ; implicit-def: $vgpr25
                                        ; implicit-def: $vgpr2_vgpr3
.LBB4_841:                              ;   in Loop: Header=BB4_539 Depth=2
	s_andn2_saveexec_b64 s[18:19], s[48:49]
; %bb.842:                              ;   in Loop: Header=BB4_539 Depth=2
	v_or_b32_sdwa v5, v25, s70 dst_sel:DWORD dst_unused:UNUSED_PAD src0_sel:BYTE_3 src1_sel:DWORD
	v_cmp_eq_u64_e32 vcc, 0, v[2:3]
	v_cndmask_b32_e32 v23, v5, v23, vcc
; %bb.843:                              ;   in Loop: Header=BB4_539 Depth=2
	s_or_b64 exec, exec, s[18:19]
	v_lshrrev_b32_e32 v28, 16, v4
	v_lshrrev_b32_e32 v2, 16, v54
	v_cmp_ne_u16_sdwa s[18:19], v28, v55 src0_sel:BYTE_0 src1_sel:DWORD
                                        ; implicit-def: $vgpr24
	s_and_saveexec_b64 vcc, s[14:15]
	s_xor_b64 s[48:49], exec, vcc
	s_cbranch_execz .LBB4_861
; %bb.844:                              ;   in Loop: Header=BB4_539 Depth=2
	v_mov_b32_e32 v5, 0
	v_mov_b32_e32 v3, 0
	s_and_saveexec_b64 s[50:51], s[18:19]
	s_cbranch_execz .LBB4_852
; %bb.845:                              ;   in Loop: Header=BB4_539 Depth=2
	v_cmp_ne_u16_sdwa vcc, v28, s68 src0_sel:BYTE_0 src1_sel:DWORD
	v_bfrev_b32_e32 v3, 1
	s_and_saveexec_b64 s[52:53], vcc
	s_cbranch_execz .LBB4_851
; %bb.846:                              ;   in Loop: Header=BB4_539 Depth=2
	v_and_b32_e32 v3, 0x7c0000, v4
	v_bfe_u32 v24, v4, 16, 2
	v_cmp_ne_u32_e32 vcc, s71, v3
                                        ; implicit-def: $vgpr3
	s_and_saveexec_b64 s[54:55], vcc
	s_xor_b64 s[54:55], exec, s[54:55]
	s_cbranch_execz .LBB4_848
; %bb.847:                              ;   in Loop: Header=BB4_539 Depth=2
	v_ffbh_u32_e32 v25, v24
	v_bfe_u32 v3, v4, 18, 5
	v_min_u32_e32 v25, 32, v25
	v_subrev_u32_e32 v29, 29, v25
	v_sub_u32_e32 v25, 30, v25
	v_cmp_eq_u32_e32 vcc, 0, v3
	v_lshlrev_b64 v[32:33], v29, v[28:29]
	v_cndmask_b32_e32 v3, v3, v25, vcc
	v_and_b32_e32 v29, 3, v32
	v_lshlrev_b32_e32 v25, 24, v28
	v_lshl_add_u32 v3, v3, 23, v47
	v_cndmask_b32_e32 v24, v24, v29, vcc
	v_and_or_b32 v3, v25, s67, v3
	v_lshl_or_b32 v3, v24, 21, v3
                                        ; implicit-def: $vgpr24
                                        ; implicit-def: $vgpr28
.LBB4_848:                              ;   in Loop: Header=BB4_539 Depth=2
	s_andn2_saveexec_b64 s[54:55], s[54:55]
; %bb.849:                              ;   in Loop: Header=BB4_539 Depth=2
	v_cmp_gt_i16_sdwa vcc, sext(v28), v6 src0_sel:BYTE_0 src1_sel:DWORD
	v_cndmask_b32_e32 v3, v7, v10, vcc
	v_cmp_eq_u32_e32 vcc, 0, v24
	v_cndmask_b32_e32 v3, v11, v3, vcc
; %bb.850:                              ;   in Loop: Header=BB4_539 Depth=2
	s_or_b64 exec, exec, s[54:55]
.LBB4_851:                              ;   in Loop: Header=BB4_539 Depth=2
	s_or_b64 exec, exec, s[52:53]
.LBB4_852:                              ;   in Loop: Header=BB4_539 Depth=2
	s_or_b64 exec, exec, s[50:51]
	v_and_b32_sdwa v24, v54, s64 dst_sel:DWORD dst_unused:UNUSED_PAD src0_sel:WORD_1 src1_sel:DWORD
	v_cmp_ne_u16_e32 vcc, 0, v24
	s_and_saveexec_b64 s[50:51], vcc
	s_cbranch_execz .LBB4_860
; %bb.853:                              ;   in Loop: Header=BB4_539 Depth=2
	v_cmp_ne_u16_e32 vcc, s68, v24
	v_bfrev_b32_e32 v5, 1
	s_and_saveexec_b64 s[52:53], vcc
	s_cbranch_execz .LBB4_859
; %bb.854:                              ;   in Loop: Header=BB4_539 Depth=2
	v_and_b32_e32 v5, 0x7c0000, v54
	v_bfe_u32 v24, v54, 16, 2
	v_cmp_ne_u32_e32 vcc, s71, v5
                                        ; implicit-def: $vgpr5
	s_and_saveexec_b64 s[54:55], vcc
	s_xor_b64 s[54:55], exec, s[54:55]
	s_cbranch_execz .LBB4_856
; %bb.855:                              ;   in Loop: Header=BB4_539 Depth=2
	v_ffbh_u32_e32 v25, v24
	v_bfe_u32 v5, v54, 18, 5
	v_min_u32_e32 v25, 32, v25
	v_subrev_u32_e32 v28, 29, v25
	v_sub_u32_e32 v25, 30, v25
	v_cmp_eq_u32_e32 vcc, 0, v5
	v_lshlrev_b64 v[28:29], v28, v[2:3]
	v_cndmask_b32_e32 v5, v5, v25, vcc
	v_and_b32_e32 v28, 3, v28
	v_lshlrev_b32_e32 v2, 24, v2
	v_lshl_add_u32 v5, v5, 23, v47
	v_cndmask_b32_e32 v24, v24, v28, vcc
	v_and_or_b32 v2, v2, s67, v5
	v_lshl_or_b32 v5, v24, 21, v2
                                        ; implicit-def: $vgpr24
                                        ; implicit-def: $vgpr2
.LBB4_856:                              ;   in Loop: Header=BB4_539 Depth=2
	s_andn2_saveexec_b64 s[54:55], s[54:55]
; %bb.857:                              ;   in Loop: Header=BB4_539 Depth=2
	v_cmp_gt_i16_sdwa vcc, sext(v2), v6 src0_sel:BYTE_0 src1_sel:DWORD
	v_cndmask_b32_e32 v2, v7, v10, vcc
	v_cmp_eq_u32_e32 vcc, 0, v24
	v_cndmask_b32_e32 v5, v11, v2, vcc
; %bb.858:                              ;   in Loop: Header=BB4_539 Depth=2
	s_or_b64 exec, exec, s[54:55]
.LBB4_859:                              ;   in Loop: Header=BB4_539 Depth=2
	s_or_b64 exec, exec, s[52:53]
.LBB4_860:                              ;   in Loop: Header=BB4_539 Depth=2
	s_or_b64 exec, exec, s[50:51]
	v_max_f32_e32 v2, v5, v5
	v_max_f32_e32 v3, v3, v3
	;; [unrolled: 1-line block ×3, first 2 shown]
                                        ; implicit-def: $vgpr28
                                        ; implicit-def: $vgpr2
.LBB4_861:                              ;   in Loop: Header=BB4_539 Depth=2
	s_andn2_saveexec_b64 s[48:49], s[48:49]
	s_cbranch_execz .LBB4_879
; %bb.862:                              ;   in Loop: Header=BB4_539 Depth=2
	v_mov_b32_e32 v5, 0
	v_mov_b32_e32 v3, 0
	s_and_saveexec_b64 s[50:51], s[18:19]
	s_cbranch_execz .LBB4_870
; %bb.863:                              ;   in Loop: Header=BB4_539 Depth=2
	v_cmp_ne_u16_sdwa vcc, v28, s68 src0_sel:BYTE_0 src1_sel:DWORD
	v_bfrev_b32_e32 v3, 1
	s_and_saveexec_b64 s[18:19], vcc
	s_cbranch_execz .LBB4_869
; %bb.864:                              ;   in Loop: Header=BB4_539 Depth=2
	v_and_b32_e32 v3, 0x7c0000, v4
	v_bfe_u32 v24, v4, 16, 2
	v_cmp_ne_u32_e32 vcc, s71, v3
                                        ; implicit-def: $vgpr3
	s_and_saveexec_b64 s[52:53], vcc
	s_xor_b64 s[52:53], exec, s[52:53]
	s_cbranch_execz .LBB4_866
; %bb.865:                              ;   in Loop: Header=BB4_539 Depth=2
	v_ffbh_u32_e32 v25, v24
	v_bfe_u32 v3, v4, 18, 5
	v_min_u32_e32 v25, 32, v25
	v_subrev_u32_e32 v29, 29, v25
	v_sub_u32_e32 v25, 30, v25
	v_cmp_eq_u32_e32 vcc, 0, v3
	v_lshlrev_b64 v[32:33], v29, v[28:29]
	v_cndmask_b32_e32 v3, v3, v25, vcc
	v_and_b32_e32 v29, 3, v32
	v_lshlrev_b32_e32 v25, 24, v28
	v_lshl_add_u32 v3, v3, 23, v47
	v_cndmask_b32_e32 v24, v24, v29, vcc
	v_and_or_b32 v3, v25, s67, v3
	v_lshl_or_b32 v3, v24, 21, v3
                                        ; implicit-def: $vgpr24
                                        ; implicit-def: $vgpr28
.LBB4_866:                              ;   in Loop: Header=BB4_539 Depth=2
	s_andn2_saveexec_b64 s[52:53], s[52:53]
; %bb.867:                              ;   in Loop: Header=BB4_539 Depth=2
	v_cmp_gt_i16_sdwa vcc, sext(v28), v6 src0_sel:BYTE_0 src1_sel:DWORD
	v_cndmask_b32_e32 v3, v7, v10, vcc
	v_cmp_eq_u32_e32 vcc, 0, v24
	v_cndmask_b32_e32 v3, v11, v3, vcc
; %bb.868:                              ;   in Loop: Header=BB4_539 Depth=2
	s_or_b64 exec, exec, s[52:53]
.LBB4_869:                              ;   in Loop: Header=BB4_539 Depth=2
	s_or_b64 exec, exec, s[18:19]
.LBB4_870:                              ;   in Loop: Header=BB4_539 Depth=2
	s_or_b64 exec, exec, s[50:51]
	v_and_b32_sdwa v24, v54, s64 dst_sel:DWORD dst_unused:UNUSED_PAD src0_sel:WORD_1 src1_sel:DWORD
	v_cmp_ne_u16_e32 vcc, 0, v24
	s_and_saveexec_b64 s[18:19], vcc
	s_cbranch_execz .LBB4_878
; %bb.871:                              ;   in Loop: Header=BB4_539 Depth=2
	v_cmp_ne_u16_e32 vcc, s68, v24
	v_bfrev_b32_e32 v5, 1
	s_and_saveexec_b64 s[50:51], vcc
	s_cbranch_execz .LBB4_877
; %bb.872:                              ;   in Loop: Header=BB4_539 Depth=2
	v_and_b32_e32 v5, 0x7c0000, v54
	v_bfe_u32 v24, v54, 16, 2
	v_cmp_ne_u32_e32 vcc, s71, v5
                                        ; implicit-def: $vgpr5
	s_and_saveexec_b64 s[52:53], vcc
	s_xor_b64 s[52:53], exec, s[52:53]
	s_cbranch_execz .LBB4_874
; %bb.873:                              ;   in Loop: Header=BB4_539 Depth=2
	v_ffbh_u32_e32 v25, v24
	v_bfe_u32 v5, v54, 18, 5
	v_min_u32_e32 v25, 32, v25
	v_subrev_u32_e32 v28, 29, v25
	v_sub_u32_e32 v25, 30, v25
	v_cmp_eq_u32_e32 vcc, 0, v5
	v_lshlrev_b64 v[28:29], v28, v[2:3]
	v_cndmask_b32_e32 v5, v5, v25, vcc
	v_and_b32_e32 v28, 3, v28
	v_lshlrev_b32_e32 v2, 24, v2
	v_lshl_add_u32 v5, v5, 23, v47
	v_cndmask_b32_e32 v24, v24, v28, vcc
	v_and_or_b32 v2, v2, s67, v5
	v_lshl_or_b32 v5, v24, 21, v2
                                        ; implicit-def: $vgpr24
                                        ; implicit-def: $vgpr2
.LBB4_874:                              ;   in Loop: Header=BB4_539 Depth=2
	s_andn2_saveexec_b64 s[52:53], s[52:53]
; %bb.875:                              ;   in Loop: Header=BB4_539 Depth=2
	v_cmp_gt_i16_sdwa vcc, sext(v2), v6 src0_sel:BYTE_0 src1_sel:DWORD
	v_cndmask_b32_e32 v2, v7, v10, vcc
	v_cmp_eq_u32_e32 vcc, 0, v24
	v_cndmask_b32_e32 v5, v11, v2, vcc
; %bb.876:                              ;   in Loop: Header=BB4_539 Depth=2
	s_or_b64 exec, exec, s[52:53]
.LBB4_877:                              ;   in Loop: Header=BB4_539 Depth=2
	s_or_b64 exec, exec, s[50:51]
.LBB4_878:                              ;   in Loop: Header=BB4_539 Depth=2
	s_or_b64 exec, exec, s[18:19]
	v_max_f32_e32 v2, v5, v5
	v_max_f32_e32 v3, v3, v3
	v_min_f32_e32 v24, v3, v2
.LBB4_879:                              ;   in Loop: Header=BB4_539 Depth=2
	s_or_b64 exec, exec, s[48:49]
	v_and_b32_sdwa v5, v24, s68 dst_sel:DWORD dst_unused:UNUSED_PAD src0_sel:BYTE_3 src1_sel:DWORD
	v_and_b32_e32 v28, 0x7f800000, v24
	v_mov_b32_e32 v29, v55
	v_and_b32_e32 v2, 0x7fffff, v24
	v_mov_b32_e32 v3, v55
	v_or_b32_e32 v25, 0x7b, v5
	v_cmp_ne_u64_e32 vcc, s[40:41], v[28:29]
	s_and_saveexec_b64 s[18:19], vcc
	s_xor_b64 s[48:49], exec, s[18:19]
	s_cbranch_execz .LBB4_889
; %bb.880:                              ;   in Loop: Header=BB4_539 Depth=2
	v_and_b32_e32 v28, 0x7fffffff, v24
	v_mov_b32_e32 v29, v55
	v_cmp_gt_u64_e32 vcc, s[42:43], v[28:29]
	s_and_saveexec_b64 s[50:51], vcc
	s_cbranch_execz .LBB4_888
; %bb.881:                              ;   in Loop: Header=BB4_539 Depth=2
	v_cmp_ne_u32_e32 vcc, 0, v24
	v_mov_b32_e32 v25, 0
	s_and_saveexec_b64 s[52:53], vcc
	s_cbranch_execz .LBB4_887
; %bb.882:                              ;   in Loop: Header=BB4_539 Depth=2
	v_bfe_u32 v24, v24, 23, 8
	v_sub_u32_e32 v28, 0x71, v24
	v_cmp_gt_u32_e32 vcc, s69, v24
	v_cndmask_b32_e32 v28, 0, v28, vcc
	v_cmp_eq_u32_e32 vcc, 0, v24
	v_cndmask_b32_e32 v28, v28, v48, vcc
	v_add_u32_e32 v25, 0xffffff81, v24
	v_add_u32_e32 v24, 21, v28
	v_or_b32_e32 v29, 0x800000, v2
	v_cndmask_b32_e32 v50, v25, v30, vcc
	v_lshlrev_b64 v[24:25], v24, -1
	v_cndmask_b32_e32 v2, v29, v2, vcc
	v_not_b32_e32 v24, v24
	v_and_b32_e32 v32, v2, v24
	v_add_u32_e32 v24, 20, v28
	v_lshrrev_b64 v[2:3], v28, v[2:3]
	v_not_b32_e32 v25, v25
	v_lshlrev_b64 v[36:37], v24, 1
	v_lshrrev_b32_e32 v24, 23, v2
	v_and_b32_e32 v33, 0, v25
	v_add3_u32 v28, v28, v50, v24
	v_bfe_u32 v24, v2, 21, 1
	v_add_u32_e32 v24, -1, v24
	v_cmp_eq_u64_e32 vcc, v[32:33], v[36:37]
	v_cndmask_b32_e32 v24, 0, v24, vcc
	v_add_u32_e32 v24, v24, v2
	v_and_b32_e32 v24, 0x1fffff, v24
	v_add_co_u32_e32 v2, vcc, v24, v2
	v_add_u32_e32 v25, 14, v28
	v_addc_co_u32_e32 v3, vcc, 0, v3, vcc
	v_cmp_ne_u32_e32 vcc, 0, v25
                                        ; implicit-def: $vgpr24
	s_and_saveexec_b64 s[18:19], vcc
	s_xor_b64 s[18:19], exec, s[18:19]
; %bb.883:                              ;   in Loop: Header=BB4_539 Depth=2
	v_add_u32_e32 v24, 15, v28
	v_cmp_lt_u64_e32 vcc, s[44:45], v[2:3]
	v_cndmask_b32_e32 v24, v25, v24, vcc
	v_cndmask_b32_e64 v25, 0, 1, vcc
	v_lshrrev_b64 v[2:3], v25, v[2:3]
; %bb.884:                              ;   in Loop: Header=BB4_539 Depth=2
	s_andn2_saveexec_b64 s[18:19], s[18:19]
; %bb.885:                              ;   in Loop: Header=BB4_539 Depth=2
	v_bfe_u32 v24, v2, 23, 1
; %bb.886:                              ;   in Loop: Header=BB4_539 Depth=2
	s_or_b64 exec, exec, s[18:19]
	v_lshrrev_b64 v[2:3], 21, v[2:3]
	v_cmp_gt_i32_e32 vcc, 32, v24
	v_cndmask_b32_e32 v3, 0, v3, vcc
	v_cndmask_b32_e32 v2, 3, v2, vcc
	v_cmp_eq_u64_e64 s[18:19], 0, v[2:3]
	v_min_i32_e32 v3, 31, v24
	v_cmp_eq_u32_e32 vcc, 0, v24
	v_lshlrev_b32_e32 v3, 2, v3
	v_and_or_b32 v2, v2, 3, v3
	s_and_b64 s[18:19], vcc, s[18:19]
	v_cndmask_b32_e64 v2, v2, 0, s[18:19]
	v_or_b32_e32 v25, v2, v5
.LBB4_887:                              ;   in Loop: Header=BB4_539 Depth=2
	s_or_b64 exec, exec, s[52:53]
.LBB4_888:                              ;   in Loop: Header=BB4_539 Depth=2
	s_or_b64 exec, exec, s[50:51]
                                        ; implicit-def: $vgpr24
                                        ; implicit-def: $vgpr2_vgpr3
.LBB4_889:                              ;   in Loop: Header=BB4_539 Depth=2
	s_andn2_saveexec_b64 s[18:19], s[48:49]
; %bb.890:                              ;   in Loop: Header=BB4_539 Depth=2
	v_or_b32_sdwa v5, v24, s70 dst_sel:DWORD dst_unused:UNUSED_PAD src0_sel:BYTE_3 src1_sel:DWORD
	v_cmp_eq_u64_e32 vcc, 0, v[2:3]
	v_cndmask_b32_e32 v25, v5, v25, vcc
; %bb.891:                              ;   in Loop: Header=BB4_539 Depth=2
	s_or_b64 exec, exec, s[18:19]
	v_mov_b32_e32 v40, v55
	v_mov_b32_e32 v41, v4
	v_lshrrev_b32_e32 v24, 24, v4
	v_lshrrev_b32_e32 v28, 24, v54
	v_mov_b32_e32 v2, v55
	v_mov_b32_e32 v3, v54
	v_cmp_lt_u64_e32 vcc, s[38:39], v[40:41]
                                        ; implicit-def: $vgpr29
	s_and_saveexec_b64 s[18:19], s[14:15]
	s_xor_b64 s[48:49], exec, s[18:19]
	s_cbranch_execz .LBB4_909
; %bb.892:                              ;   in Loop: Header=BB4_539 Depth=2
	v_mov_b32_e32 v29, 0
	v_mov_b32_e32 v5, 0
	s_and_saveexec_b64 s[50:51], vcc
	s_cbranch_execz .LBB4_900
; %bb.893:                              ;   in Loop: Header=BB4_539 Depth=2
	v_cmp_ne_u32_e64 s[18:19], s68, v24
	v_bfrev_b32_e32 v5, 1
	s_and_saveexec_b64 s[52:53], s[18:19]
	s_cbranch_execz .LBB4_899
; %bb.894:                              ;   in Loop: Header=BB4_539 Depth=2
	v_and_b32_e32 v5, 0x7c000000, v4
	v_bfe_u32 v32, v4, 24, 2
	v_cmp_ne_u32_e64 s[18:19], s72, v5
                                        ; implicit-def: $vgpr5
	s_and_saveexec_b64 s[54:55], s[18:19]
	s_xor_b64 s[54:55], exec, s[54:55]
	s_cbranch_execz .LBB4_896
; %bb.895:                              ;   in Loop: Header=BB4_539 Depth=2
	v_ffbh_u32_e32 v33, v32
	v_min_u32_e32 v33, 32, v33
	v_bfe_u32 v5, v4, 26, 5
	v_subrev_u32_e32 v36, 29, v33
	v_lshlrev_b64 v[36:37], v36, v[24:25]
	v_sub_u32_e32 v24, 30, v33
	v_cmp_eq_u32_e64 s[18:19], 0, v5
	v_cndmask_b32_e64 v5, v5, v24, s[18:19]
	v_and_b32_e32 v33, 3, v36
	v_lshl_add_u32 v5, v5, 23, v47
	v_cndmask_b32_e64 v24, v32, v33, s[18:19]
	v_and_or_b32 v4, v4, s67, v5
	v_lshl_or_b32 v5, v24, 21, v4
                                        ; implicit-def: $vgpr32
                                        ; implicit-def: $vgpr40_vgpr41
.LBB4_896:                              ;   in Loop: Header=BB4_539 Depth=2
	s_andn2_saveexec_b64 s[54:55], s[54:55]
; %bb.897:                              ;   in Loop: Header=BB4_539 Depth=2
	v_cmp_lt_i64_e64 s[18:19], -1, v[40:41]
	v_cndmask_b32_e64 v4, v7, v10, s[18:19]
	v_cmp_eq_u32_e64 s[18:19], 0, v32
	v_cndmask_b32_e64 v5, v11, v4, s[18:19]
; %bb.898:                              ;   in Loop: Header=BB4_539 Depth=2
	s_or_b64 exec, exec, s[54:55]
.LBB4_899:                              ;   in Loop: Header=BB4_539 Depth=2
	s_or_b64 exec, exec, s[52:53]
.LBB4_900:                              ;   in Loop: Header=BB4_539 Depth=2
	s_or_b64 exec, exec, s[50:51]
	v_cmp_lt_u32_e64 s[18:19], s39, v54
	s_and_saveexec_b64 s[50:51], s[18:19]
	s_cbranch_execz .LBB4_908
; %bb.901:                              ;   in Loop: Header=BB4_539 Depth=2
	v_cmp_ne_u32_e64 s[18:19], s68, v28
	v_bfrev_b32_e32 v29, 1
	s_and_saveexec_b64 s[52:53], s[18:19]
	s_cbranch_execz .LBB4_907
; %bb.902:                              ;   in Loop: Header=BB4_539 Depth=2
	v_and_b32_e32 v24, 0x7c000000, v54
	v_bfe_u32 v4, v54, 24, 2
	v_cmp_ne_u32_e64 s[18:19], s72, v24
                                        ; implicit-def: $vgpr29
	s_and_saveexec_b64 s[54:55], s[18:19]
	s_xor_b64 s[54:55], exec, s[54:55]
	s_cbranch_execz .LBB4_904
; %bb.903:                              ;   in Loop: Header=BB4_539 Depth=2
	v_ffbh_u32_e32 v2, v4
	v_min_u32_e32 v29, 32, v2
	v_subrev_u32_e32 v2, 29, v29
	v_bfe_u32 v24, v54, 26, 5
	v_lshlrev_b64 v[2:3], v2, v[28:29]
	v_sub_u32_e32 v3, 30, v29
	v_cmp_eq_u32_e64 s[18:19], 0, v24
	v_cndmask_b32_e64 v3, v24, v3, s[18:19]
	v_and_b32_e32 v2, 3, v2
	v_lshl_add_u32 v3, v3, 23, v47
	v_cndmask_b32_e64 v2, v4, v2, s[18:19]
	v_and_or_b32 v3, v54, s67, v3
	v_lshl_or_b32 v29, v2, 21, v3
                                        ; implicit-def: $vgpr4
                                        ; implicit-def: $vgpr2_vgpr3
.LBB4_904:                              ;   in Loop: Header=BB4_539 Depth=2
	s_andn2_saveexec_b64 s[54:55], s[54:55]
; %bb.905:                              ;   in Loop: Header=BB4_539 Depth=2
	v_cmp_lt_i64_e64 s[18:19], -1, v[2:3]
	v_cndmask_b32_e64 v2, v7, v10, s[18:19]
	v_cmp_eq_u32_e64 s[18:19], 0, v4
	v_cndmask_b32_e64 v29, v11, v2, s[18:19]
; %bb.906:                              ;   in Loop: Header=BB4_539 Depth=2
	s_or_b64 exec, exec, s[54:55]
.LBB4_907:                              ;   in Loop: Header=BB4_539 Depth=2
	s_or_b64 exec, exec, s[52:53]
.LBB4_908:                              ;   in Loop: Header=BB4_539 Depth=2
	s_or_b64 exec, exec, s[50:51]
	v_max_f32_e32 v2, v29, v29
	v_max_f32_e32 v3, v5, v5
	;; [unrolled: 1-line block ×3, first 2 shown]
                                        ; implicit-def: $vgpr28
                                        ; implicit-def: $vgpr24
                                        ; implicit-def: $vgpr2_vgpr3
                                        ; implicit-def: $vgpr40_vgpr41
                                        ; implicit-def: $vgpr4_vgpr5
.LBB4_909:                              ;   in Loop: Header=BB4_539 Depth=2
	s_andn2_saveexec_b64 s[18:19], s[48:49]
	s_cbranch_execz .LBB4_927
; %bb.910:                              ;   in Loop: Header=BB4_539 Depth=2
	v_mov_b32_e32 v29, 0
	v_mov_b32_e32 v5, 0
	s_and_saveexec_b64 s[48:49], vcc
	s_cbranch_execz .LBB4_918
; %bb.911:                              ;   in Loop: Header=BB4_539 Depth=2
	v_cmp_ne_u32_e32 vcc, s68, v24
	v_bfrev_b32_e32 v5, 1
	s_and_saveexec_b64 s[50:51], vcc
	s_cbranch_execz .LBB4_917
; %bb.912:                              ;   in Loop: Header=BB4_539 Depth=2
	v_and_b32_e32 v5, 0x7c000000, v4
	v_bfe_u32 v32, v4, 24, 2
	v_cmp_ne_u32_e32 vcc, s72, v5
                                        ; implicit-def: $vgpr5
	s_and_saveexec_b64 s[52:53], vcc
	s_xor_b64 s[52:53], exec, s[52:53]
	s_cbranch_execz .LBB4_914
; %bb.913:                              ;   in Loop: Header=BB4_539 Depth=2
	v_ffbh_u32_e32 v33, v32
	v_min_u32_e32 v33, 32, v33
	v_bfe_u32 v5, v4, 26, 5
	v_subrev_u32_e32 v36, 29, v33
	v_lshlrev_b64 v[36:37], v36, v[24:25]
	v_sub_u32_e32 v24, 30, v33
	v_cmp_eq_u32_e32 vcc, 0, v5
	v_cndmask_b32_e32 v5, v5, v24, vcc
	v_and_b32_e32 v33, 3, v36
	v_lshl_add_u32 v5, v5, 23, v47
	v_cndmask_b32_e32 v24, v32, v33, vcc
	v_and_or_b32 v4, v4, s67, v5
	v_lshl_or_b32 v5, v24, 21, v4
                                        ; implicit-def: $vgpr32
                                        ; implicit-def: $vgpr40_vgpr41
.LBB4_914:                              ;   in Loop: Header=BB4_539 Depth=2
	s_andn2_saveexec_b64 s[52:53], s[52:53]
; %bb.915:                              ;   in Loop: Header=BB4_539 Depth=2
	v_cmp_lt_i64_e32 vcc, -1, v[40:41]
	v_cndmask_b32_e32 v4, v7, v10, vcc
	v_cmp_eq_u32_e32 vcc, 0, v32
	v_cndmask_b32_e32 v5, v11, v4, vcc
; %bb.916:                              ;   in Loop: Header=BB4_539 Depth=2
	s_or_b64 exec, exec, s[52:53]
.LBB4_917:                              ;   in Loop: Header=BB4_539 Depth=2
	s_or_b64 exec, exec, s[50:51]
.LBB4_918:                              ;   in Loop: Header=BB4_539 Depth=2
	s_or_b64 exec, exec, s[48:49]
	v_cmp_lt_u32_e32 vcc, s39, v54
	s_and_saveexec_b64 s[48:49], vcc
	s_cbranch_execz .LBB4_926
; %bb.919:                              ;   in Loop: Header=BB4_539 Depth=2
	v_cmp_ne_u32_e32 vcc, s68, v28
	v_bfrev_b32_e32 v29, 1
	s_and_saveexec_b64 s[50:51], vcc
	s_cbranch_execz .LBB4_925
; %bb.920:                              ;   in Loop: Header=BB4_539 Depth=2
	v_and_b32_e32 v24, 0x7c000000, v54
	v_bfe_u32 v4, v54, 24, 2
	v_cmp_ne_u32_e32 vcc, s72, v24
                                        ; implicit-def: $vgpr29
	s_and_saveexec_b64 s[52:53], vcc
	s_xor_b64 s[52:53], exec, s[52:53]
	s_cbranch_execz .LBB4_922
; %bb.921:                              ;   in Loop: Header=BB4_539 Depth=2
	v_ffbh_u32_e32 v2, v4
	v_min_u32_e32 v29, 32, v2
	v_subrev_u32_e32 v2, 29, v29
	v_bfe_u32 v24, v54, 26, 5
	v_lshlrev_b64 v[2:3], v2, v[28:29]
	v_sub_u32_e32 v3, 30, v29
	v_cmp_eq_u32_e32 vcc, 0, v24
	v_cndmask_b32_e32 v3, v24, v3, vcc
	v_and_b32_e32 v2, 3, v2
	v_lshl_add_u32 v3, v3, 23, v47
	v_cndmask_b32_e32 v2, v4, v2, vcc
	v_and_or_b32 v3, v54, s67, v3
	v_lshl_or_b32 v29, v2, 21, v3
                                        ; implicit-def: $vgpr4
                                        ; implicit-def: $vgpr2_vgpr3
.LBB4_922:                              ;   in Loop: Header=BB4_539 Depth=2
	s_andn2_saveexec_b64 s[52:53], s[52:53]
; %bb.923:                              ;   in Loop: Header=BB4_539 Depth=2
	v_cmp_lt_i64_e32 vcc, -1, v[2:3]
	v_cndmask_b32_e32 v2, v7, v10, vcc
	v_cmp_eq_u32_e32 vcc, 0, v4
	v_cndmask_b32_e32 v29, v11, v2, vcc
; %bb.924:                              ;   in Loop: Header=BB4_539 Depth=2
	s_or_b64 exec, exec, s[52:53]
.LBB4_925:                              ;   in Loop: Header=BB4_539 Depth=2
	s_or_b64 exec, exec, s[50:51]
.LBB4_926:                              ;   in Loop: Header=BB4_539 Depth=2
	s_or_b64 exec, exec, s[48:49]
	v_max_f32_e32 v2, v29, v29
	v_max_f32_e32 v3, v5, v5
	v_min_f32_e32 v29, v3, v2
.LBB4_927:                              ;   in Loop: Header=BB4_539 Depth=2
	s_or_b64 exec, exec, s[18:19]
	v_and_b32_sdwa v4, v29, s68 dst_sel:DWORD dst_unused:UNUSED_PAD src0_sel:BYTE_3 src1_sel:DWORD
	v_and_b32_e32 v32, 0x7f800000, v29
	v_mov_b32_e32 v33, v55
	v_and_b32_e32 v54, 0x7fffff, v29
	v_or_b32_e32 v2, 0x7b, v4
	v_cmp_ne_u64_e32 vcc, s[40:41], v[32:33]
	s_and_saveexec_b64 s[18:19], vcc
	s_xor_b64 s[48:49], exec, s[18:19]
	s_cbranch_execz .LBB4_937
; %bb.928:                              ;   in Loop: Header=BB4_539 Depth=2
	v_and_b32_e32 v32, 0x7fffffff, v29
	v_mov_b32_e32 v33, v55
	v_cmp_gt_u64_e32 vcc, s[42:43], v[32:33]
	s_and_saveexec_b64 s[50:51], vcc
	s_cbranch_execz .LBB4_936
; %bb.929:                              ;   in Loop: Header=BB4_539 Depth=2
	v_cmp_ne_u32_e32 vcc, 0, v29
	v_mov_b32_e32 v2, 0
	s_and_saveexec_b64 s[52:53], vcc
	s_cbranch_execz .LBB4_935
; %bb.930:                              ;   in Loop: Header=BB4_539 Depth=2
	v_bfe_u32 v2, v29, 23, 8
	v_sub_u32_e32 v5, 0x71, v2
	v_cmp_gt_u32_e32 vcc, s69, v2
	v_cndmask_b32_e32 v5, 0, v5, vcc
	v_cmp_eq_u32_e32 vcc, 0, v2
	v_or_b32_e32 v24, 0x800000, v54
	v_cndmask_b32_e32 v5, v5, v48, vcc
	v_add_u32_e32 v3, 0xffffff81, v2
	v_cndmask_b32_e32 v54, v24, v54, vcc
	v_add_u32_e32 v2, 21, v5
	v_cndmask_b32_e32 v28, v3, v30, vcc
	v_lshlrev_b64 v[2:3], v2, -1
	v_add_u32_e32 v24, 20, v5
	v_lshrrev_b64 v[36:37], v5, v[54:55]
	v_not_b32_e32 v3, v3
	v_not_b32_e32 v2, v2
	v_lshlrev_b64 v[32:33], v24, 1
	v_lshrrev_b32_e32 v24, 23, v36
	v_and_b32_e32 v3, 0, v3
	v_and_b32_e32 v2, v54, v2
	v_add3_u32 v28, v5, v28, v24
	v_bfe_u32 v5, v36, 21, 1
	v_add_u32_e32 v5, -1, v5
	v_cmp_eq_u64_e32 vcc, v[2:3], v[32:33]
	v_cndmask_b32_e32 v2, 0, v5, vcc
	v_add_u32_e32 v2, v2, v36
	v_and_b32_e32 v2, 0x1fffff, v2
	v_add_co_u32_e32 v2, vcc, v2, v36
	v_add_u32_e32 v24, 14, v28
	v_addc_co_u32_e32 v3, vcc, 0, v37, vcc
	v_cmp_ne_u32_e32 vcc, 0, v24
                                        ; implicit-def: $vgpr5
	s_and_saveexec_b64 s[18:19], vcc
	s_xor_b64 s[18:19], exec, s[18:19]
; %bb.931:                              ;   in Loop: Header=BB4_539 Depth=2
	v_add_u32_e32 v5, 15, v28
	v_cmp_lt_u64_e32 vcc, s[44:45], v[2:3]
	v_cndmask_b32_e32 v5, v24, v5, vcc
	v_cndmask_b32_e64 v24, 0, 1, vcc
	v_lshrrev_b64 v[2:3], v24, v[2:3]
; %bb.932:                              ;   in Loop: Header=BB4_539 Depth=2
	s_andn2_saveexec_b64 s[18:19], s[18:19]
; %bb.933:                              ;   in Loop: Header=BB4_539 Depth=2
	v_bfe_u32 v5, v2, 23, 1
; %bb.934:                              ;   in Loop: Header=BB4_539 Depth=2
	s_or_b64 exec, exec, s[18:19]
	v_lshrrev_b64 v[2:3], 21, v[2:3]
	v_cmp_gt_i32_e32 vcc, 32, v5
	v_cndmask_b32_e32 v3, 0, v3, vcc
	v_cndmask_b32_e32 v2, 3, v2, vcc
	v_cmp_eq_u64_e64 s[18:19], 0, v[2:3]
	v_min_i32_e32 v3, 31, v5
	v_lshlrev_b32_e32 v3, 2, v3
	v_cmp_eq_u32_e32 vcc, 0, v5
	v_and_b32_e32 v3, 0xfc, v3
	v_and_or_b32 v2, v2, 3, v3
	s_and_b64 s[18:19], vcc, s[18:19]
	v_cndmask_b32_e64 v2, v2, 0, s[18:19]
	v_or_b32_e32 v2, v2, v4
.LBB4_935:                              ;   in Loop: Header=BB4_539 Depth=2
	s_or_b64 exec, exec, s[52:53]
.LBB4_936:                              ;   in Loop: Header=BB4_539 Depth=2
	s_or_b64 exec, exec, s[50:51]
                                        ; implicit-def: $vgpr29
.LBB4_937:                              ;   in Loop: Header=BB4_539 Depth=2
	s_andn2_saveexec_b64 s[18:19], s[48:49]
; %bb.938:                              ;   in Loop: Header=BB4_539 Depth=2
	v_or_b32_sdwa v3, v29, s70 dst_sel:DWORD dst_unused:UNUSED_PAD src0_sel:BYTE_3 src1_sel:DWORD
	v_cmp_eq_u64_e32 vcc, 0, v[54:55]
	v_cndmask_b32_e32 v2, v3, v2, vcc
; %bb.939:                              ;   in Loop: Header=BB4_539 Depth=2
	s_or_b64 exec, exec, s[18:19]
	v_cmp_lt_u32_e32 vcc, 7, v62
	v_cndmask_b32_e64 v3, 0, 1, vcc
	;;#ASMSTART
	;;#ASMEND
	v_cmp_ne_u32_e64 s[18:19], 0, v3
	s_cmp_lg_u64 s[18:19], exec
	s_mov_b64 s[18:19], -1
	s_cbranch_scc0 .LBB4_949
; %bb.940:                              ;   in Loop: Header=BB4_539 Depth=2
	v_cmp_ne_u32_e64 s[18:19], 1, v62
	flat_store_byte v[0:1], v8
	s_and_saveexec_b64 s[48:49], s[18:19]
	s_cbranch_execnz .LBB4_951
; %bb.941:                              ;   in Loop: Header=BB4_539 Depth=2
	s_or_b64 exec, exec, s[48:49]
	v_cmp_lt_u32_e64 s[18:19], 2, v62
	s_and_saveexec_b64 s[48:49], s[18:19]
	s_cbranch_execnz .LBB4_952
.LBB4_942:                              ;   in Loop: Header=BB4_539 Depth=2
	s_or_b64 exec, exec, s[48:49]
	v_cmp_lt_u32_e64 s[18:19], 3, v62
	s_and_saveexec_b64 s[48:49], s[18:19]
	s_cbranch_execnz .LBB4_953
.LBB4_943:                              ;   in Loop: Header=BB4_539 Depth=2
	s_or_b64 exec, exec, s[48:49]
	v_cmp_lt_u32_e64 s[18:19], 4, v62
	s_and_saveexec_b64 s[48:49], s[18:19]
	s_cbranch_execnz .LBB4_954
.LBB4_944:                              ;   in Loop: Header=BB4_539 Depth=2
	s_or_b64 exec, exec, s[48:49]
	v_cmp_lt_u32_e64 s[18:19], 5, v62
	s_and_saveexec_b64 s[48:49], s[18:19]
	s_cbranch_execnz .LBB4_955
.LBB4_945:                              ;   in Loop: Header=BB4_539 Depth=2
	s_or_b64 exec, exec, s[48:49]
	v_cmp_lt_u32_e64 s[18:19], 6, v62
	s_and_saveexec_b64 s[48:49], s[18:19]
	s_cbranch_execnz .LBB4_956
.LBB4_946:                              ;   in Loop: Header=BB4_539 Depth=2
	s_or_b64 exec, exec, s[48:49]
	s_and_saveexec_b64 s[18:19], vcc
	s_cbranch_execz .LBB4_948
.LBB4_947:                              ;   in Loop: Header=BB4_539 Depth=2
	flat_store_byte v[0:1], v2 offset:7
.LBB4_948:                              ;   in Loop: Header=BB4_539 Depth=2
	s_or_b64 exec, exec, s[18:19]
	s_mov_b64 s[18:19], 0
.LBB4_949:                              ;   in Loop: Header=BB4_539 Depth=2
	s_and_b64 vcc, exec, s[18:19]
	s_cbranch_vccz .LBB4_538
; %bb.950:                              ;   in Loop: Header=BB4_539 Depth=2
	v_perm_b32 v4, v27, v21, s75
	v_lshlrev_b32_e32 v3, 8, v9
	v_perm_b32 v4, v4, v8, s76
	v_and_or_b32 v4, v3, s77, v4
	v_lshlrev_b32_e32 v3, 8, v23
	v_lshlrev_b32_e32 v5, 16, v25
	;; [unrolled: 1-line block ×3, first 2 shown]
	v_perm_b32 v3, v3, v22, s73
	v_and_b32_e32 v5, 0xff0000, v5
	v_or3_b32 v5, v2, v3, v5
	global_store_dwordx2 v[0:1], v[4:5], off
	s_branch .LBB4_538
.LBB4_951:                              ;   in Loop: Header=BB4_539 Depth=2
	flat_store_byte v[0:1], v9 offset:1
	s_or_b64 exec, exec, s[48:49]
	v_cmp_lt_u32_e64 s[18:19], 2, v62
	s_and_saveexec_b64 s[48:49], s[18:19]
	s_cbranch_execz .LBB4_942
.LBB4_952:                              ;   in Loop: Header=BB4_539 Depth=2
	flat_store_byte v[0:1], v21 offset:2
	s_or_b64 exec, exec, s[48:49]
	v_cmp_lt_u32_e64 s[18:19], 3, v62
	s_and_saveexec_b64 s[48:49], s[18:19]
	s_cbranch_execz .LBB4_943
.LBB4_953:                              ;   in Loop: Header=BB4_539 Depth=2
	flat_store_byte v[0:1], v27 offset:3
	s_or_b64 exec, exec, s[48:49]
	v_cmp_lt_u32_e64 s[18:19], 4, v62
	s_and_saveexec_b64 s[48:49], s[18:19]
	s_cbranch_execz .LBB4_944
.LBB4_954:                              ;   in Loop: Header=BB4_539 Depth=2
	flat_store_byte v[0:1], v22 offset:4
	s_or_b64 exec, exec, s[48:49]
	v_cmp_lt_u32_e64 s[18:19], 5, v62
	s_and_saveexec_b64 s[48:49], s[18:19]
	s_cbranch_execz .LBB4_945
.LBB4_955:                              ;   in Loop: Header=BB4_539 Depth=2
	flat_store_byte v[0:1], v23 offset:5
	s_or_b64 exec, exec, s[48:49]
	v_cmp_lt_u32_e64 s[18:19], 6, v62
	s_and_saveexec_b64 s[48:49], s[18:19]
	s_cbranch_execz .LBB4_946
.LBB4_956:                              ;   in Loop: Header=BB4_539 Depth=2
	flat_store_byte v[0:1], v25 offset:6
	s_or_b64 exec, exec, s[48:49]
	s_and_saveexec_b64 s[18:19], vcc
	s_cbranch_execnz .LBB4_947
	s_branch .LBB4_948
.LBB4_957:                              ;   in Loop: Header=BB4_21 Depth=1
	s_or_b64 exec, exec, s[46:47]
	v_accvgpr_read_b32 v33, a11
	v_accvgpr_read_b32 v36, a42
	;; [unrolled: 1-line block ×5, first 2 shown]
.LBB4_958:                              ;   in Loop: Header=BB4_21 Depth=1
	s_or_b64 exec, exec, s[20:21]
	v_accvgpr_read_b32 v4, a4
	v_accvgpr_read_b32 v18, a24
	;; [unrolled: 1-line block ×4, first 2 shown]
	s_and_saveexec_b64 s[18:19], s[10:11]
	s_cbranch_execz .LBB4_977
; %bb.959:                              ;   in Loop: Header=BB4_21 Depth=1
	s_and_saveexec_b64 s[20:21], s[30:31]
	s_xor_b64 s[20:21], exec, s[20:21]
	s_cbranch_execz .LBB4_974
; %bb.960:                              ;   in Loop: Header=BB4_21 Depth=1
	s_and_saveexec_b64 s[46:47], s[12:13]
	s_cbranch_execz .LBB4_973
; %bb.961:                              ;   in Loop: Header=BB4_21 Depth=1
	s_mov_b64 s[50:51], exec
	v_mbcnt_lo_u32_b32 v0, s50, 0
	v_mbcnt_hi_u32_b32 v0, s51, v0
	v_cmp_eq_u32_e32 vcc, 0, v0
	s_waitcnt vmcnt(0) lgkmcnt(0)
	buffer_wbinvl1_vol
	s_and_saveexec_b64 s[48:49], vcc
	s_cbranch_execz .LBB4_963
; %bb.962:                              ;   in Loop: Header=BB4_21 Depth=1
	s_bcnt1_i32_b64 vcc_lo, s[50:51]
	v_mov_b32_e32 v54, vcc_lo
	ds_add_u64 v0, v[54:55]
	s_trap 2
.LBB4_963:                              ;   in Loop: Header=BB4_21 Depth=1
	s_or_b64 exec, exec, s[48:49]
	s_trap 2
	ds_read_b64 v[0:1], v0
	v_accvgpr_read_b32 v2, a30
	v_add_co_u32_e32 v42, vcc, v42, v2
	v_accvgpr_read_b32 v3, a41
	v_addc_co_u32_e32 v43, vcc, v43, v3, vcc
	s_waitcnt lgkmcnt(0)
	v_cmp_lt_u64_e32 vcc, v[0:1], v[42:43]
	s_and_saveexec_b64 s[48:49], vcc
	s_cbranch_execz .LBB4_972
; %bb.964:                              ;   in Loop: Header=BB4_21 Depth=1
	s_mov_b32 s60, 0
	s_mov_b64 s[50:51], 0
                                        ; implicit-def: $sgpr52_sgpr53
                                        ; implicit-def: $sgpr54_sgpr55
	s_branch .LBB4_966
.LBB4_965:                              ;   in Loop: Header=BB4_966 Depth=2
	s_or_b64 exec, exec, s[58:59]
	s_and_b64 vcc, exec, vcc
	s_or_b64 s[50:51], vcc, s[50:51]
	s_andn2_b64 vcc, s[52:53], exec
	s_and_b64 s[52:53], s[54:55], exec
	s_or_b64 s[52:53], vcc, s[52:53]
	s_andn2_b64 exec, exec, s[50:51]
	s_cbranch_execz .LBB4_970
.LBB4_966:                              ;   Parent Loop BB4_21 Depth=1
                                        ; =>  This Inner Loop Header: Depth=2
	s_add_i32 s60, s60, 1
	s_cmpk_lg_i32 s60, 0x2710
	s_cselect_b64 s[56:57], -1, 0
	s_and_b64 vcc, exec, s[56:57]
                                        ; implicit-def: $sgpr58_sgpr59
	s_cbranch_vccnz .LBB4_968
; %bb.967:                              ;   in Loop: Header=BB4_966 Depth=2
	s_trap 2
	ds_read_b64 v[0:1], v0
	s_andn2_b64 s[56:57], s[56:57], exec
	s_mov_b32 s60, 0
	s_mov_b64 s[58:59], -1
	s_waitcnt lgkmcnt(0)
	flat_load_dword v0, v[0:1] glc
	s_waitcnt vmcnt(0) lgkmcnt(0)
	buffer_invl2
	buffer_wbinvl1_vol
	v_cmp_eq_u32_e32 vcc, 0, v0
	s_and_b64 vcc, vcc, exec
	s_or_b64 s[56:57], s[56:57], vcc
.LBB4_968:                              ;   in Loop: Header=BB4_966 Depth=2
	s_andn2_b64 s[54:55], s[54:55], exec
	s_and_b64 s[58:59], s[58:59], exec
	s_mov_b64 vcc, -1
	s_or_b64 s[54:55], s[54:55], s[58:59]
	s_and_saveexec_b64 s[58:59], s[56:57]
	s_cbranch_execz .LBB4_965
; %bb.969:                              ;   in Loop: Header=BB4_966 Depth=2
	s_sleep 1
	s_trap 2
	ds_read_b64 v[0:1], v0
	s_andn2_b64 s[54:55], s[54:55], exec
	s_waitcnt lgkmcnt(0)
	v_cmp_ge_u64_e32 vcc, v[0:1], v[42:43]
	s_orn2_b64 vcc, vcc, exec
	s_branch .LBB4_965
.LBB4_970:                              ;   in Loop: Header=BB4_21 Depth=1
	s_or_b64 exec, exec, s[50:51]
	s_and_saveexec_b64 vcc, s[52:53]
	s_xor_b64 vcc, exec, vcc
	s_cbranch_execz .LBB4_972
; %bb.971:                              ;   in Loop: Header=BB4_21 Depth=1
	v_mov_b32_e32 v0, 1
	ds_write_b32 v0, v0
	s_trap 2
.LBB4_972:                              ;   in Loop: Header=BB4_21 Depth=1
	s_or_b64 exec, exec, s[48:49]
	;;#ASMSTART
	s_wakeup
	;;#ASMEND
.LBB4_973:                              ;   in Loop: Header=BB4_21 Depth=1
	s_or_b64 exec, exec, s[46:47]
.LBB4_974:                              ;   in Loop: Header=BB4_21 Depth=1
	s_andn2_saveexec_b64 s[20:21], s[20:21]
	s_cbranch_execz .LBB4_976
; %bb.975:                              ;   in Loop: Header=BB4_21 Depth=1
	s_waitcnt vmcnt(0) lgkmcnt(0)
	buffer_wbinvl1_vol
	s_barrier
.LBB4_976:                              ;   in Loop: Header=BB4_21 Depth=1
	s_or_b64 exec, exec, s[20:21]
.LBB4_977:                              ;   in Loop: Header=BB4_21 Depth=1
	s_or_b64 exec, exec, s[18:19]
	s_and_saveexec_b64 s[18:19], s[16:17]
	s_cbranch_execz .LBB4_20
; %bb.978:                              ;   in Loop: Header=BB4_21 Depth=1
	v_add_co_u32_e32 v38, vcc, 1, v38
	v_accvgpr_read_b32 v0, a22
	v_addc_co_u32_e32 v39, vcc, 0, v39, vcc
	v_accvgpr_read_b32 v1, a23
	flat_store_dwordx2 v[0:1], v[38:39]
	s_branch .LBB4_20
.LBB4_979:
	s_or_b64 exec, exec, s[28:29]
	v_accvgpr_read_b32 v25, a15
	v_accvgpr_read_b32 v29, a17
	;; [unrolled: 1-line block ×6, first 2 shown]
.LBB4_980:
	s_or_b64 exec, exec, s[26:27]
; %bb.981:
	s_and_saveexec_b64 s[6:7], s[24:25]
	s_cbranch_execnz .LBB4_984
; %bb.982:
	s_or_b64 exec, exec, s[6:7]
	s_and_saveexec_b64 s[6:7], s[4:5]
	s_cbranch_execnz .LBB4_985
.LBB4_983:
	s_or_b64 exec, exec, s[6:7]
	v_cmp_ne_u32_e32 vcc, 64, v20
	s_and_saveexec_b64 s[4:5], vcc
	s_cbranch_execnz .LBB4_986
	s_branch .LBB4_1003
.LBB4_984:
	s_waitcnt vmcnt(0) lgkmcnt(0)
	flat_store_dwordx2 v[28:29], v[38:39] offset:104
	s_or_b64 exec, exec, s[6:7]
	s_and_saveexec_b64 s[6:7], s[4:5]
	s_cbranch_execz .LBB4_983
.LBB4_985:
	s_waitcnt vmcnt(0) lgkmcnt(0)
	flat_store_dwordx2 v[24:25], v[14:15] offset:104
	s_or_b64 exec, exec, s[6:7]
	v_cmp_ne_u32_e32 vcc, 64, v20
	s_and_saveexec_b64 s[4:5], vcc
	s_cbranch_execz .LBB4_1003
.LBB4_986:
	v_cmp_ne_u32_sdwa s[6:7], v9, v20 src0_sel:WORD_0 src1_sel:DWORD
	s_and_saveexec_b64 s[8:9], s[6:7]
	s_xor_b64 s[6:7], exec, s[8:9]
	s_cbranch_execz .LBB4_1001
; %bb.987:
	v_and_b32_e32 v0, 63, v31
	v_cmp_eq_u32_e32 vcc, 0, v0
	s_and_saveexec_b64 s[8:9], vcc
	s_cbranch_execz .LBB4_1000
; %bb.988:
	s_mov_b64 s[12:13], exec
	v_mbcnt_lo_u32_b32 v0, s12, 0
	v_mbcnt_hi_u32_b32 v0, s13, v0
	v_cmp_eq_u32_e32 vcc, 0, v0
	s_waitcnt vmcnt(0) lgkmcnt(0)
	buffer_wbinvl1_vol
	s_and_saveexec_b64 s[10:11], vcc
	s_cbranch_execz .LBB4_990
; %bb.989:
	s_bcnt1_i32_b64 s12, s[12:13]
	v_mov_b32_e32 v0, s12
	v_mov_b32_e32 v1, 0
	ds_add_u64 v0, v[0:1]
	s_trap 2
.LBB4_990:
	s_or_b64 exec, exec, s[10:11]
	v_ashrrev_i32_e32 v0, 31, v20
	v_lshrrev_b32_e32 v0, 26, v0
	v_add_u32_e32 v0, v20, v0
	v_ashrrev_i32_e32 v0, 6, v0
	s_trap 2
	ds_read_b64 v[2:3], v0
	v_ashrrev_i32_e32 v1, 31, v0
	v_add_co_u32_e32 v0, vcc, v42, v0
	v_addc_co_u32_e32 v1, vcc, v43, v1, vcc
	s_waitcnt lgkmcnt(0)
	v_cmp_lt_u64_e32 vcc, v[2:3], v[0:1]
	s_and_saveexec_b64 s[10:11], vcc
	s_cbranch_execz .LBB4_999
; %bb.991:
	s_mov_b32 s24, 0
	s_mov_b64 s[12:13], 0
                                        ; implicit-def: $sgpr14_sgpr15
                                        ; implicit-def: $sgpr16_sgpr17
	s_branch .LBB4_993
.LBB4_992:                              ;   in Loop: Header=BB4_993 Depth=1
	s_or_b64 exec, exec, s[22:23]
	s_and_b64 s[18:19], exec, s[20:21]
	s_or_b64 s[12:13], s[18:19], s[12:13]
	s_andn2_b64 s[14:15], s[14:15], exec
	s_and_b64 s[18:19], s[16:17], exec
	s_or_b64 s[14:15], s[14:15], s[18:19]
	s_andn2_b64 exec, exec, s[12:13]
	s_cbranch_execz .LBB4_997
.LBB4_993:                              ; =>This Inner Loop Header: Depth=1
	s_add_i32 s24, s24, 1
	s_cmpk_lg_i32 s24, 0x2710
	s_cselect_b64 s[18:19], -1, 0
	s_and_b64 vcc, exec, s[18:19]
                                        ; implicit-def: $sgpr22_sgpr23
	s_cbranch_vccnz .LBB4_995
; %bb.994:                              ;   in Loop: Header=BB4_993 Depth=1
	s_trap 2
	ds_read_b64 v[2:3], v0
	s_andn2_b64 s[18:19], s[18:19], exec
	s_mov_b32 s24, 0
	s_mov_b64 s[22:23], -1
	s_waitcnt lgkmcnt(0)
	flat_load_dword v2, v[2:3] glc
	s_waitcnt vmcnt(0) lgkmcnt(0)
	buffer_invl2
	buffer_wbinvl1_vol
	v_cmp_eq_u32_e32 vcc, 0, v2
	s_and_b64 s[20:21], vcc, exec
	s_or_b64 s[18:19], s[18:19], s[20:21]
.LBB4_995:                              ;   in Loop: Header=BB4_993 Depth=1
	s_andn2_b64 s[16:17], s[16:17], exec
	s_and_b64 s[22:23], s[22:23], exec
	s_mov_b64 s[20:21], -1
	s_or_b64 s[16:17], s[16:17], s[22:23]
	s_and_saveexec_b64 s[22:23], s[18:19]
	s_cbranch_execz .LBB4_992
; %bb.996:                              ;   in Loop: Header=BB4_993 Depth=1
	s_sleep 1
	s_trap 2
	ds_read_b64 v[2:3], v0
	s_andn2_b64 s[16:17], s[16:17], exec
	s_waitcnt lgkmcnt(0)
	v_cmp_ge_u64_e32 vcc, v[2:3], v[0:1]
	s_orn2_b64 s[20:21], vcc, exec
	s_branch .LBB4_992
.LBB4_997:
	s_or_b64 exec, exec, s[12:13]
	s_and_saveexec_b64 s[12:13], s[14:15]
	s_xor_b64 s[12:13], exec, s[12:13]
	s_cbranch_execz .LBB4_999
; %bb.998:
	v_mov_b32_e32 v0, 1
	ds_write_b32 v0, v0
	s_trap 2
.LBB4_999:
	s_or_b64 exec, exec, s[10:11]
	;;#ASMSTART
	s_wakeup
	;;#ASMEND
.LBB4_1000:
	s_or_b64 exec, exec, s[8:9]
.LBB4_1001:
	s_andn2_saveexec_b64 s[6:7], s[6:7]
	s_cbranch_execz .LBB4_1003
; %bb.1002:
	s_waitcnt vmcnt(0) lgkmcnt(0)
	buffer_wbinvl1_vol
	s_barrier
.LBB4_1003:
	s_or_b64 exec, exec, s[4:5]
	buffer_load_dword a49, off, s[0:3], s32 ; 4-byte Folded Reload
	buffer_load_dword a48, off, s[0:3], s32 offset:4 ; 4-byte Folded Reload
	buffer_load_dword a46, off, s[0:3], s32 offset:8 ; 4-byte Folded Reload
	;; [unrolled: 1-line block ×31, first 2 shown]
	v_readlane_b32 s30, v63, 46
	v_readlane_b32 s31, v63, 47
	;; [unrolled: 1-line block ×48, first 2 shown]
	s_or_saveexec_b64 s[4:5], -1
	buffer_load_dword v63, off, s[0:3], s32 offset:128 ; 4-byte Folded Reload
	s_mov_b64 exec, s[4:5]
	s_waitcnt vmcnt(0) lgkmcnt(0)
	s_setpc_b64 s[30:31]
.Lfunc_end4:
	.size	_ZN12_GLOBAL__N_17runRingI14__hip_fp8_e5m210FuncMinMaxIS1_E7ProtoLLLi0ELi4ELi0EEEviiP15ncclDevWorkColl, .Lfunc_end4-_ZN12_GLOBAL__N_17runRingI14__hip_fp8_e5m210FuncMinMaxIS1_E7ProtoLLLi0ELi4ELi0EEEviiP15ncclDevWorkColl
                                        ; -- End function
	.section	.AMDGPU.csdata,"",@progbits
; Function info:
; codeLenInByte = 28704
; NumSgprs: 84
; NumVgprs: 64
; NumAgprs: 50
; TotalNumVgprs: 114
; ScratchSize: 136
; MemoryBound: 0
	.text
	.p2align	2                               ; -- Begin function _Z53ncclDevFunc_ReduceScatter_RING_LL_MinMax_f8e5m2_0_0_4v
	.type	_Z53ncclDevFunc_ReduceScatter_RING_LL_MinMax_f8e5m2_0_0_4v,@function
_Z53ncclDevFunc_ReduceScatter_RING_LL_MinMax_f8e5m2_0_0_4v: ; @_Z53ncclDevFunc_ReduceScatter_RING_LL_MinMax_f8e5m2_0_0_4v
; %bb.0:
	s_waitcnt vmcnt(0) expcnt(0) lgkmcnt(0)
	s_mov_b32 s4, s33
	s_mov_b32 s33, s32
	s_or_saveexec_b64 s[6:7], -1
	buffer_store_dword v43, off, s[0:3], s33 offset:16 ; 4-byte Folded Spill
	s_mov_b64 exec, s[6:7]
	v_writelane_b32 v43, s4, 56
	s_addk_i32 s32, 0x800
	buffer_store_dword v40, off, s[0:3], s33 offset:12 ; 4-byte Folded Spill
	buffer_store_dword v41, off, s[0:3], s33 offset:8 ; 4-byte Folded Spill
	;; [unrolled: 1-line block ×3, first 2 shown]
	buffer_store_dword v63, off, s[0:3], s33 ; 4-byte Folded Spill
	v_writelane_b32 v43, s34, 0
	v_writelane_b32 v43, s35, 1
	;; [unrolled: 1-line block ×56, first 2 shown]
	s_trap 2
	ds_read_b32 v0, v0
	v_mov_b32_e32 v40, v31
	v_and_b32_e32 v41, 0x3ff, v40
	s_mov_b32 s82, s12
	s_mov_b64 s[80:81], s[8:9]
	s_waitcnt lgkmcnt(0)
	v_cmp_lt_i32_e32 vcc, v41, v0
	s_and_saveexec_b64 s[4:5], vcc
	s_cbranch_execz .LBB5_5
; %bb.1:
	s_load_dword s6, s[80:81], 0x0
	v_mov_b32_e32 v1, 0
	s_mov_b32 s10, 0
	v_mov_b32_e32 v4, v41
                                        ; implicit-def: $vgpr2
	s_waitcnt lgkmcnt(0)
	s_cmp_lt_u32 s82, s6
	s_cselect_b32 s6, 12, 18
	s_add_u32 s6, s80, s6
	s_addc_u32 s7, s81, 0
	global_load_ushort v1, v1, s[6:7]
	s_trap 2
	ds_read_b32 v3, v0
	s_mov_b64 s[6:7], 0
	s_waitcnt vmcnt(0) lgkmcnt(0)
	v_mul_lo_u32 v3, v3, v1
	s_branch .LBB5_3
.LBB5_2:                                ;   in Loop: Header=BB5_3 Depth=1
	s_or_b64 exec, exec, s[8:9]
	v_add_u32_e32 v4, v4, v1
	v_cmp_ge_i32_e32 vcc, v4, v0
	s_or_b64 s[6:7], vcc, s[6:7]
	v_add_u32_e32 v2, v2, v3
	s_andn2_b64 exec, exec, s[6:7]
	s_cbranch_execz .LBB5_5
.LBB5_3:                                ; =>This Inner Loop Header: Depth=1
	ds_read_b32 v5, v2
	s_waitcnt lgkmcnt(0)
	v_and_b32_e32 v5, 0x1000000, v5
	v_cmp_ne_u32_e32 vcc, 0, v5
	s_and_saveexec_b64 s[8:9], vcc
	s_cbranch_execz .LBB5_2
; %bb.4:                                ;   in Loop: Header=BB5_3 Depth=1
	ds_read_b64 v[6:7], v2 offset:104
	s_waitcnt lgkmcnt(0)
	flat_load_ubyte v5, v[6:7]
	v_mov_b32_e32 v7, s10
	s_waitcnt vmcnt(0) lgkmcnt(0)
	v_and_b32_e32 v6, 0xffff, v5
	ds_write_b64 v2, v[6:7] offset:104
	s_branch .LBB5_2
.LBB5_5:
	s_or_b64 exec, exec, s[4:5]
	s_waitcnt lgkmcnt(0)
	s_barrier
	s_trap 2
	ds_read_b32 v0, v0
	s_waitcnt lgkmcnt(0)
	v_cmp_gt_i32_e32 vcc, 1, v0
	s_cbranch_vccnz .LBB5_13
; %bb.6:
	s_mov_b32 s83, 0
	s_mov_b64 s[84:85], src_shared_base
	v_mov_b32_e32 v42, 6
	s_branch .LBB5_8
.LBB5_7:                                ;   in Loop: Header=BB5_8 Depth=1
	s_or_b64 exec, exec, s[86:87]
	s_trap 2
	ds_read_b32 v0, v0
	s_add_i32 s83, s83, 1
	s_waitcnt lgkmcnt(0)
	v_cmp_lt_i32_e32 vcc, s83, v0
	s_cbranch_vccz .LBB5_13
.LBB5_8:                                ; =>This Inner Loop Header: Depth=1
	s_trap 2
	ds_read_b32 v0, v0
	s_cmp_eq_u32 s83, 0
	s_cbranch_scc1 .LBB5_11
; %bb.9:                                ;   in Loop: Header=BB5_8 Depth=1
	s_trap 2
	s_waitcnt lgkmcnt(0)
	ds_read_b32 v1, v0
	s_waitcnt lgkmcnt(0)
	v_xor_b32_e32 v1, v1, v0
	v_and_b32_e32 v1, 0xff0000, v1
	v_cmp_eq_u32_e32 vcc, 0, v1
	s_cbranch_vccnz .LBB5_11
; %bb.10:                               ;   in Loop: Header=BB5_8 Depth=1
	s_barrier
	ds_read_b32 v0, v0
.LBB5_11:                               ;   in Loop: Header=BB5_8 Depth=1
	s_waitcnt lgkmcnt(0)
	v_lshlrev_b32_sdwa v1, v42, v0 dst_sel:DWORD dst_unused:UNUSED_PAD src0_sel:DWORD src1_sel:BYTE_2
	v_cmp_lt_u32_e32 vcc, v41, v1
	s_and_saveexec_b64 s[86:87], vcc
	s_cbranch_execz .LBB5_7
; %bb.12:                               ;   in Loop: Header=BB5_8 Depth=1
	s_mov_b64 s[8:9], s[80:81]
	s_mov_b32 s12, s82
	v_mov_b32_e32 v31, v40
	v_mov_b32_e32 v0, v41
	;; [unrolled: 1-line block ×3, first 2 shown]
	s_getpc_b64 s[4:5]
	s_add_u32 s4, s4, _ZN12_GLOBAL__N_17runRingI14__hip_fp8_e5m210FuncMinMaxIS1_E7ProtoLLLi0ELi4ELi0EEEviiP15ncclDevWorkColl@rel32@lo+4
	s_addc_u32 s5, s5, _ZN12_GLOBAL__N_17runRingI14__hip_fp8_e5m210FuncMinMaxIS1_E7ProtoLLLi0ELi4ELi0EEEviiP15ncclDevWorkColl@rel32@hi+12
	s_swappc_b64 s[30:31], s[4:5]
	s_branch .LBB5_7
.LBB5_13:
	buffer_load_dword v63, off, s[0:3], s33 ; 4-byte Folded Reload
	buffer_load_dword v42, off, s[0:3], s33 offset:4 ; 4-byte Folded Reload
	buffer_load_dword v41, off, s[0:3], s33 offset:8 ; 4-byte Folded Reload
	;; [unrolled: 1-line block ×3, first 2 shown]
	v_readlane_b32 s30, v43, 54
	v_readlane_b32 s31, v43, 55
	;; [unrolled: 1-line block ×57, first 2 shown]
	s_or_saveexec_b64 s[6:7], -1
	buffer_load_dword v43, off, s[0:3], s33 offset:16 ; 4-byte Folded Reload
	s_mov_b64 exec, s[6:7]
	s_addk_i32 s32, 0xf800
	s_mov_b32 s33, s4
	s_waitcnt vmcnt(0)
	s_setpc_b64 s[30:31]
.Lfunc_end5:
	.size	_Z53ncclDevFunc_ReduceScatter_RING_LL_MinMax_f8e5m2_0_0_4v, .Lfunc_end5-_Z53ncclDevFunc_ReduceScatter_RING_LL_MinMax_f8e5m2_0_0_4v
                                        ; -- End function
	.section	.AMDGPU.csdata,"",@progbits
; Function info:
; codeLenInByte = 1504
; NumSgprs: 92
; NumVgprs: 64
; NumAgprs: 50
; TotalNumVgprs: 114
; ScratchSize: 168
; MemoryBound: 0
	.text
	.p2alignl 6, 3212836864
	.fill 256, 4, 3212836864
	.type	__hip_cuid_ff55d329aec0ea69,@object ; @__hip_cuid_ff55d329aec0ea69
	.section	.bss,"aw",@nobits
	.globl	__hip_cuid_ff55d329aec0ea69
__hip_cuid_ff55d329aec0ea69:
	.byte	0                               ; 0x0
	.size	__hip_cuid_ff55d329aec0ea69, 1

	.ident	"AMD clang version 19.0.0git (https://github.com/RadeonOpenCompute/llvm-project roc-6.4.0 25133 c7fe45cf4b819c5991fe208aaa96edf142730f1d)"
	.section	".note.GNU-stack","",@progbits
	.addrsig
	.addrsig_sym _Z53ncclDevFunc_ReduceScatter_RING_LL_MinMax_f8e5m2_0_0_1v
	.addrsig_sym _Z53ncclDevFunc_ReduceScatter_RING_LL_MinMax_f8e5m2_0_0_2v
	.addrsig_sym _Z53ncclDevFunc_ReduceScatter_RING_LL_MinMax_f8e5m2_0_0_4v
	.addrsig_sym ncclShmem
	.addrsig_sym __hip_cuid_ff55d329aec0ea69
	.amdgpu_metadata
---
amdhsa.kernels:  []
amdhsa.target:   amdgcn-amd-amdhsa--gfx90a
amdhsa.version:
  - 1
  - 2
...

	.end_amdgpu_metadata
